;; amdgpu-corpus repo=ROCm/rocFFT kind=compiled arch=gfx906 opt=O3
	.text
	.amdgcn_target "amdgcn-amd-amdhsa--gfx906"
	.amdhsa_code_object_version 6
	.protected	bluestein_single_fwd_len468_dim1_dp_op_CI_CI ; -- Begin function bluestein_single_fwd_len468_dim1_dp_op_CI_CI
	.globl	bluestein_single_fwd_len468_dim1_dp_op_CI_CI
	.p2align	8
	.type	bluestein_single_fwd_len468_dim1_dp_op_CI_CI,@function
bluestein_single_fwd_len468_dim1_dp_op_CI_CI: ; @bluestein_single_fwd_len468_dim1_dp_op_CI_CI
; %bb.0:
	s_mov_b64 s[54:55], s[2:3]
	s_mov_b64 s[52:53], s[0:1]
	s_load_dwordx4 s[0:3], s[4:5], 0x28
	v_mul_u32_u24_e32 v1, 0x4ed, v0
	v_add_u32_sdwa v231, s6, v1 dst_sel:DWORD dst_unused:UNUSED_PAD src0_sel:DWORD src1_sel:WORD_1
	v_mov_b32_e32 v232, 0
	s_add_u32 s52, s52, s7
	s_waitcnt lgkmcnt(0)
	v_cmp_gt_u64_e32 vcc, s[0:1], v[231:232]
	s_addc_u32 s53, s53, 0
	s_and_saveexec_b64 s[0:1], vcc
	s_cbranch_execz .LBB0_23
; %bb.1:
	s_load_dwordx2 s[14:15], s[4:5], 0x0
	s_load_dwordx2 s[12:13], s[4:5], 0x38
	v_mov_b32_e32 v2, 52
	v_mul_lo_u16_sdwa v1, v1, v2 dst_sel:DWORD dst_unused:UNUSED_PAD src0_sel:WORD_1 src1_sel:DWORD
	v_sub_u16_e32 v232, v0, v1
	v_cmp_gt_u16_e64 s[0:1], 36, v232
	v_lshlrev_b32_e32 v255, 4, v232
	s_and_saveexec_b64 s[6:7], s[0:1]
	s_cbranch_execz .LBB0_3
; %bb.2:
	s_load_dwordx2 s[8:9], s[4:5], 0x18
	s_waitcnt lgkmcnt(0)
	s_load_dwordx4 s[8:11], s[8:9], 0x0
	s_waitcnt lgkmcnt(0)
	v_mad_u64_u32 v[0:1], s[16:17], s10, v231, 0
	v_mad_u64_u32 v[2:3], s[16:17], s8, v232, 0
	;; [unrolled: 1-line block ×4, first 2 shown]
	v_mov_b32_e32 v1, v4
	v_lshlrev_b64 v[0:1], 4, v[0:1]
	v_mov_b32_e32 v3, v5
	v_mov_b32_e32 v6, s3
	v_lshlrev_b64 v[2:3], 4, v[2:3]
	v_add_co_u32_e32 v0, vcc, s2, v0
	v_addc_co_u32_e32 v1, vcc, v6, v1, vcc
	v_add_co_u32_e32 v16, vcc, v0, v2
	v_addc_co_u32_e32 v17, vcc, v1, v3, vcc
	v_mov_b32_e32 v0, s15
	v_add_co_u32_e32 v70, vcc, s14, v255
	s_mul_i32 s2, s9, 0x240
	s_mul_hi_u32 s3, s8, 0x240
	v_addc_co_u32_e32 v71, vcc, 0, v0, vcc
	s_add_i32 s2, s3, s2
	s_mul_i32 s3, s8, 0x240
	v_mov_b32_e32 v0, s2
	v_add_co_u32_e32 v18, vcc, s3, v16
	v_addc_co_u32_e32 v19, vcc, v17, v0, vcc
	global_load_dwordx4 v[0:3], v[16:17], off
	global_load_dwordx4 v[4:7], v[18:19], off
	global_load_dwordx4 v[8:11], v255, s[14:15]
	global_load_dwordx4 v[12:15], v255, s[14:15] offset:576
	v_mov_b32_e32 v16, s2
	v_add_co_u32_e32 v32, vcc, s3, v18
	v_addc_co_u32_e32 v33, vcc, v19, v16, vcc
	v_add_co_u32_e32 v34, vcc, s3, v32
	v_addc_co_u32_e32 v35, vcc, v33, v16, vcc
	global_load_dwordx4 v[16:19], v[32:33], off
	global_load_dwordx4 v[20:23], v[34:35], off
	global_load_dwordx4 v[24:27], v255, s[14:15] offset:1152
	global_load_dwordx4 v[28:31], v255, s[14:15] offset:1728
	v_mov_b32_e32 v32, s2
	v_add_co_u32_e32 v36, vcc, s3, v34
	v_addc_co_u32_e32 v37, vcc, v35, v32, vcc
	v_mov_b32_e32 v38, s2
	v_add_co_u32_e32 v48, vcc, s3, v36
	global_load_dwordx4 v[32:35], v[36:37], off
	v_addc_co_u32_e32 v49, vcc, v37, v38, vcc
	global_load_dwordx4 v[36:39], v[48:49], off
	global_load_dwordx4 v[40:43], v255, s[14:15] offset:2304
	global_load_dwordx4 v[44:47], v255, s[14:15] offset:2880
	v_mov_b32_e32 v50, s2
	v_add_co_u32_e32 v52, vcc, s3, v48
	v_addc_co_u32_e32 v53, vcc, v49, v50, vcc
	v_mov_b32_e32 v54, s2
	v_add_co_u32_e32 v64, vcc, s3, v52
	v_addc_co_u32_e32 v65, vcc, v53, v54, vcc
	v_mov_b32_e32 v66, s2
	v_add_co_u32_e32 v68, vcc, s3, v64
	v_addc_co_u32_e32 v69, vcc, v65, v66, vcc
	s_movk_i32 s8, 0x1000
	v_add_co_u32_e32 v104, vcc, s8, v70
	v_addc_co_u32_e32 v105, vcc, 0, v71, vcc
	v_mov_b32_e32 v70, s2
	v_add_co_u32_e32 v80, vcc, s3, v68
	v_addc_co_u32_e32 v81, vcc, v69, v70, vcc
	global_load_dwordx4 v[48:51], v[52:53], off
	v_mov_b32_e32 v82, s2
	v_add_co_u32_e32 v84, vcc, s3, v80
	global_load_dwordx4 v[52:55], v[64:65], off
	global_load_dwordx4 v[56:59], v255, s[14:15] offset:3456
	global_load_dwordx4 v[60:63], v255, s[14:15] offset:4032
	v_addc_co_u32_e32 v85, vcc, v81, v82, vcc
	global_load_dwordx4 v[64:67], v[68:69], off
	v_mov_b32_e32 v86, s2
	v_add_co_u32_e32 v96, vcc, s3, v84
	global_load_dwordx4 v[68:71], v[80:81], off
	global_load_dwordx4 v[72:75], v[104:105], off offset:512
	global_load_dwordx4 v[76:79], v[104:105], off offset:1088
	v_addc_co_u32_e32 v97, vcc, v85, v86, vcc
	global_load_dwordx4 v[80:83], v[84:85], off
	v_mov_b32_e32 v98, s2
	v_add_co_u32_e32 v106, vcc, s3, v96
	global_load_dwordx4 v[84:87], v[96:97], off
	global_load_dwordx4 v[88:91], v[104:105], off offset:1664
	global_load_dwordx4 v[92:95], v[104:105], off offset:2240
	v_addc_co_u32_e32 v107, vcc, v97, v98, vcc
	global_load_dwordx4 v[96:99], v[106:107], off
	global_load_dwordx4 v[100:103], v[104:105], off offset:2816
	s_waitcnt vmcnt(23)
	v_mul_f64 v[104:105], v[2:3], v[10:11]
	v_mul_f64 v[10:11], v[0:1], v[10:11]
	v_fma_f64 v[0:1], v[0:1], v[8:9], v[104:105]
	v_fma_f64 v[2:3], v[2:3], v[8:9], -v[10:11]
	s_waitcnt vmcnt(22)
	v_mul_f64 v[8:9], v[6:7], v[14:15]
	v_mul_f64 v[10:11], v[4:5], v[14:15]
	s_waitcnt vmcnt(19)
	v_mul_f64 v[14:15], v[18:19], v[26:27]
	v_mul_f64 v[26:27], v[16:17], v[26:27]
	;; [unrolled: 3-line block ×3, first 2 shown]
	v_fma_f64 v[4:5], v[4:5], v[12:13], v[8:9]
	v_fma_f64 v[6:7], v[6:7], v[12:13], -v[10:11]
	v_fma_f64 v[8:9], v[16:17], v[24:25], v[14:15]
	v_fma_f64 v[10:11], v[18:19], v[24:25], -v[26:27]
	s_waitcnt vmcnt(15)
	v_mul_f64 v[106:107], v[34:35], v[42:43]
	v_mul_f64 v[42:43], v[32:33], v[42:43]
	v_fma_f64 v[12:13], v[20:21], v[28:29], v[104:105]
	v_fma_f64 v[14:15], v[22:23], v[28:29], -v[30:31]
	v_fma_f64 v[16:17], v[32:33], v[40:41], v[106:107]
	v_fma_f64 v[18:19], v[34:35], v[40:41], -v[42:43]
	ds_write_b128 v255, v[0:3]
	ds_write_b128 v255, v[4:7] offset:576
	ds_write_b128 v255, v[8:11] offset:1152
	;; [unrolled: 1-line block ×4, first 2 shown]
	s_waitcnt vmcnt(14)
	v_mul_f64 v[0:1], v[38:39], v[46:47]
	v_mul_f64 v[2:3], v[36:37], v[46:47]
	v_fma_f64 v[0:1], v[36:37], v[44:45], v[0:1]
	v_fma_f64 v[2:3], v[38:39], v[44:45], -v[2:3]
	s_waitcnt vmcnt(11)
	v_mul_f64 v[4:5], v[50:51], v[58:59]
	v_mul_f64 v[6:7], v[48:49], v[58:59]
	s_waitcnt vmcnt(10)
	v_mul_f64 v[8:9], v[54:55], v[62:63]
	v_mul_f64 v[10:11], v[52:53], v[62:63]
	;; [unrolled: 3-line block ×4, first 2 shown]
	v_fma_f64 v[4:5], v[48:49], v[56:57], v[4:5]
	v_fma_f64 v[6:7], v[50:51], v[56:57], -v[6:7]
	v_fma_f64 v[8:9], v[52:53], v[60:61], v[8:9]
	s_waitcnt vmcnt(3)
	v_mul_f64 v[20:21], v[82:83], v[90:91]
	v_mul_f64 v[22:23], v[80:81], v[90:91]
	s_waitcnt vmcnt(2)
	v_mul_f64 v[24:25], v[86:87], v[94:95]
	v_mul_f64 v[26:27], v[84:85], v[94:95]
	s_waitcnt vmcnt(0)
	v_mul_f64 v[28:29], v[98:99], v[102:103]
	v_mul_f64 v[30:31], v[96:97], v[102:103]
	v_fma_f64 v[10:11], v[54:55], v[60:61], -v[10:11]
	v_fma_f64 v[12:13], v[64:65], v[72:73], v[12:13]
	v_fma_f64 v[14:15], v[66:67], v[72:73], -v[14:15]
	v_fma_f64 v[16:17], v[68:69], v[76:77], v[16:17]
	;; [unrolled: 2-line block ×5, first 2 shown]
	v_fma_f64 v[30:31], v[98:99], v[100:101], -v[30:31]
	ds_write_b128 v255, v[0:3] offset:2880
	ds_write_b128 v255, v[4:7] offset:3456
	;; [unrolled: 1-line block ×8, first 2 shown]
.LBB0_3:
	s_or_b64 exec, exec, s[6:7]
	s_load_dwordx2 s[2:3], s[4:5], 0x20
	s_load_dwordx2 s[8:9], s[4:5], 0x8
	s_waitcnt lgkmcnt(0)
	; wave barrier
	s_waitcnt lgkmcnt(0)
                                        ; implicit-def: $vgpr4_vgpr5
                                        ; implicit-def: $vgpr8_vgpr9
                                        ; implicit-def: $vgpr12_vgpr13
                                        ; implicit-def: $vgpr20_vgpr21
                                        ; implicit-def: $vgpr28_vgpr29
                                        ; implicit-def: $vgpr44_vgpr45
                                        ; implicit-def: $vgpr52_vgpr53
                                        ; implicit-def: $vgpr48_vgpr49
                                        ; implicit-def: $vgpr40_vgpr41
                                        ; implicit-def: $vgpr36_vgpr37
                                        ; implicit-def: $vgpr32_vgpr33
                                        ; implicit-def: $vgpr24_vgpr25
                                        ; implicit-def: $vgpr16_vgpr17
	s_and_saveexec_b64 s[4:5], s[0:1]
	s_cbranch_execz .LBB0_5
; %bb.4:
	ds_read_b128 v[4:7], v255
	ds_read_b128 v[16:19], v255 offset:576
	ds_read_b128 v[24:27], v255 offset:1152
	ds_read_b128 v[8:11], v255 offset:1728
	ds_read_b128 v[12:15], v255 offset:2304
	ds_read_b128 v[32:35], v255 offset:2880
	ds_read_b128 v[36:39], v255 offset:3456
	ds_read_b128 v[20:23], v255 offset:4032
	ds_read_b128 v[28:31], v255 offset:4608
	ds_read_b128 v[40:43], v255 offset:5184
	ds_read_b128 v[48:51], v255 offset:5760
	ds_read_b128 v[44:47], v255 offset:6336
	ds_read_b128 v[52:55], v255 offset:6912
.LBB0_5:
	s_or_b64 exec, exec, s[4:5]
	s_waitcnt lgkmcnt(0)
	v_add_f64 v[92:93], v[16:17], -v[52:53]
	s_mov_b32 s16, 0x42a4c3d2
	s_mov_b32 s17, 0xbfea55e2
	v_add_f64 v[90:91], v[54:55], v[18:19]
	v_add_f64 v[120:121], v[24:25], -v[44:45]
	s_mov_b32 s20, 0x4267c47c
	s_mov_b32 s4, 0x1ea71119
	;; [unrolled: 1-line block ×3, first 2 shown]
	v_mul_f64 v[145:146], v[92:93], s[16:17]
	s_mov_b32 s21, 0xbfddbe06
	s_mov_b32 s5, 0x3fe22d96
	;; [unrolled: 1-line block ×3, first 2 shown]
	v_mul_f64 v[58:59], v[92:93], s[20:21]
	v_add_f64 v[110:111], v[46:47], v[26:27]
	v_add_f64 v[137:138], v[8:9], -v[48:49]
	v_mul_f64 v[116:117], v[120:121], s[22:23]
	v_fma_f64 v[76:77], v[90:91], s[4:5], -v[145:146]
	s_mov_b32 s6, 0xe00740e9
	s_mov_b32 s18, 0xb2365da1
	;; [unrolled: 1-line block ×6, first 2 shown]
	v_fma_f64 v[2:3], v[90:91], s[6:7], -v[58:59]
	v_mul_f64 v[62:63], v[120:121], s[16:17]
	v_add_f64 v[126:127], v[10:11], v[50:51]
	v_add_f64 v[149:150], v[12:13], -v[40:41]
	v_add_f64 v[76:77], v[6:7], v[76:77]
	v_fma_f64 v[80:81], v[110:111], s[18:19], -v[116:117]
	v_mul_f64 v[118:119], v[137:138], s[40:41]
	s_mov_b32 s28, 0x66966769
	s_mov_b32 s36, 0x24c2f84
	;; [unrolled: 1-line block ×6, first 2 shown]
	v_add_f64 v[112:113], v[18:19], -v[54:55]
	v_add_f64 v[2:3], v[6:7], v[2:3]
	v_fma_f64 v[70:71], v[110:111], s[4:5], -v[62:63]
	v_mul_f64 v[66:67], v[137:138], s[28:29]
	v_add_f64 v[132:133], v[14:15], v[42:43]
	v_add_f64 v[161:162], v[32:33], -v[28:29]
	v_add_f64 v[76:77], v[80:81], v[76:77]
	v_fma_f64 v[80:81], v[126:127], s[30:31], -v[118:119]
	v_mul_f64 v[122:123], v[149:150], s[36:37]
	s_mov_b32 s10, 0xebaa3ed8
	s_mov_b32 s26, 0xd0032e0c
	;; [unrolled: 1-line block ×6, first 2 shown]
	v_add_f64 v[86:87], v[52:53], v[16:17]
	v_mul_f64 v[233:234], v[112:113], s[20:21]
	v_add_f64 v[141:142], v[26:27], -v[46:47]
	v_add_f64 v[2:3], v[70:71], v[2:3]
	v_fma_f64 v[74:75], v[126:127], s[10:11], -v[66:67]
	v_mul_f64 v[70:71], v[149:150], s[22:23]
	v_add_f64 v[159:160], v[30:31], v[34:35]
	v_add_f64 v[76:77], v[80:81], v[76:77]
	v_fma_f64 v[80:81], v[132:133], s[26:27], -v[122:123]
	v_mul_f64 v[128:129], v[161:162], s[42:43]
	v_mul_f64 v[143:144], v[112:113], s[28:29]
	;; [unrolled: 1-line block ×3, first 2 shown]
	v_fma_f64 v[0:1], v[86:87], s[6:7], v[233:234]
	v_add_f64 v[108:109], v[44:45], v[24:25]
	v_mul_f64 v[60:61], v[141:142], s[16:17]
	v_add_f64 v[151:152], v[10:11], -v[50:51]
	v_add_f64 v[2:3], v[74:75], v[2:3]
	v_fma_f64 v[74:75], v[132:133], s[18:19], -v[70:71]
	v_mul_f64 v[94:95], v[112:113], s[16:17]
	v_add_f64 v[76:77], v[80:81], v[76:77]
	v_fma_f64 v[80:81], v[159:160], s[10:11], -v[128:129]
	v_fma_f64 v[153:154], v[86:87], s[10:11], v[143:144]
	v_mul_f64 v[147:148], v[141:142], s[40:41]
	v_fma_f64 v[155:156], v[90:91], s[10:11], -v[183:184]
	v_mul_f64 v[185:186], v[120:121], s[40:41]
	v_mul_f64 v[189:190], v[112:113], s[22:23]
	;; [unrolled: 1-line block ×3, first 2 shown]
	s_mov_b32 s45, 0x3fedeba7
	s_mov_b32 s44, s22
	v_add_f64 v[0:1], v[4:5], v[0:1]
	v_fma_f64 v[68:69], v[108:109], s[4:5], v[60:61]
	v_add_f64 v[124:125], v[8:9], v[48:49]
	v_mul_f64 v[64:65], v[151:152], s[28:29]
	v_add_f64 v[169:170], v[14:15], -v[42:43]
	v_add_f64 v[2:3], v[74:75], v[2:3]
	v_fma_f64 v[74:75], v[86:87], s[4:5], v[94:95]
	v_mul_f64 v[100:101], v[141:142], s[22:23]
	v_add_f64 v[76:77], v[80:81], v[76:77]
	v_add_f64 v[80:81], v[4:5], v[153:154]
	v_fma_f64 v[163:164], v[108:109], s[30:31], v[147:148]
	v_add_f64 v[155:156], v[6:7], v[155:156]
	v_fma_f64 v[165:166], v[110:111], s[30:31], -v[185:186]
	v_mul_f64 v[157:158], v[137:138], s[44:45]
	v_fma_f64 v[173:174], v[86:87], s[18:19], v[189:190]
	v_mul_f64 v[191:192], v[141:142], s[36:37]
	v_fma_f64 v[175:176], v[90:91], s[18:19], -v[201:202]
	v_mul_f64 v[203:204], v[120:121], s[36:37]
	s_mov_b32 s39, 0x3fddbe06
	s_mov_b32 s38, s20
	v_add_f64 v[0:1], v[68:69], v[0:1]
	v_fma_f64 v[72:73], v[124:125], s[10:11], v[64:65]
	v_add_f64 v[130:131], v[12:13], v[40:41]
	v_mul_f64 v[68:69], v[169:170], s[22:23]
	v_add_f64 v[181:182], v[34:35], -v[30:31]
	v_add_f64 v[74:75], v[4:5], v[74:75]
	v_fma_f64 v[78:79], v[108:109], s[18:19], v[100:101]
	v_mul_f64 v[102:103], v[151:152], s[40:41]
	v_mul_f64 v[153:154], v[151:152], s[44:45]
	v_add_f64 v[80:81], v[163:164], v[80:81]
	v_add_f64 v[165:166], v[165:166], v[155:156]
	v_fma_f64 v[193:194], v[126:127], s[18:19], -v[157:158]
	v_mul_f64 v[163:164], v[149:150], s[38:39]
	v_add_f64 v[173:174], v[4:5], v[173:174]
	v_fma_f64 v[197:198], v[108:109], s[26:27], v[191:192]
	v_add_f64 v[175:176], v[6:7], v[175:176]
	v_fma_f64 v[199:200], v[110:111], s[26:27], -v[203:204]
	v_mul_f64 v[195:196], v[151:152], s[38:39]
	v_mul_f64 v[205:206], v[137:138], s[38:39]
	s_mov_b32 s35, 0xbfe5384d
	s_mov_b32 s34, s36
	v_add_f64 v[0:1], v[72:73], v[0:1]
	v_fma_f64 v[72:73], v[130:131], s[18:19], v[68:69]
	v_add_f64 v[139:140], v[28:29], v[32:33]
	v_mul_f64 v[84:85], v[181:182], s[34:35]
	v_add_f64 v[74:75], v[78:79], v[74:75]
	v_fma_f64 v[78:79], v[124:125], s[30:31], v[102:103]
	v_mul_f64 v[104:105], v[169:170], s[36:37]
	v_fma_f64 v[179:180], v[124:125], s[18:19], v[153:154]
	v_mul_f64 v[155:156], v[169:170], s[38:39]
	v_add_f64 v[165:166], v[193:194], v[165:166]
	v_fma_f64 v[193:194], v[132:133], s[6:7], -v[163:164]
	v_add_f64 v[173:174], v[197:198], v[173:174]
	v_add_f64 v[199:200], v[199:200], v[175:176]
	v_fma_f64 v[207:208], v[124:125], s[6:7], v[195:196]
	v_fma_f64 v[209:210], v[126:127], s[6:7], -v[205:206]
	v_mul_f64 v[197:198], v[169:170], s[28:29]
	v_mul_f64 v[211:212], v[149:150], s[28:29]
	s_mov_b32 s47, 0x3fcea1e5
	s_mov_b32 s46, s40
	v_add_f64 v[0:1], v[72:73], v[0:1]
	v_fma_f64 v[72:73], v[139:140], s[26:27], v[84:85]
	v_mul_f64 v[88:89], v[161:162], s[34:35]
	v_add_f64 v[171:172], v[38:39], -v[22:23]
	v_add_f64 v[187:188], v[36:37], -v[20:21]
	v_add_f64 v[74:75], v[78:79], v[74:75]
	v_fma_f64 v[78:79], v[130:131], s[26:27], v[104:105]
	v_mul_f64 v[106:107], v[181:182], s[42:43]
	v_add_f64 v[80:81], v[179:180], v[80:81]
	v_fma_f64 v[179:180], v[130:131], s[6:7], v[155:156]
	v_add_f64 v[215:216], v[193:194], v[165:166]
	v_mul_f64 v[165:166], v[181:182], s[16:17]
	v_mul_f64 v[175:176], v[161:162], s[16:17]
	v_add_f64 v[217:218], v[207:208], v[173:174]
	v_add_f64 v[199:200], v[209:210], v[199:200]
	v_fma_f64 v[209:210], v[130:131], s[10:11], v[197:198]
	v_fma_f64 v[219:220], v[132:133], s[10:11], -v[211:212]
	v_mul_f64 v[193:194], v[181:182], s[46:47]
	v_mul_f64 v[207:208], v[161:162], s[46:47]
	s_mov_b32 s49, 0x3fea55e2
	s_mov_b32 s48, s16
	v_add_f64 v[0:1], v[72:73], v[0:1]
	v_fma_f64 v[72:73], v[159:160], s[26:27], -v[88:89]
	v_add_f64 v[167:168], v[20:21], v[36:37]
	v_mul_f64 v[96:97], v[171:172], s[40:41]
	v_add_f64 v[177:178], v[22:23], v[38:39]
	v_mul_f64 v[98:99], v[187:188], s[40:41]
	v_add_f64 v[74:75], v[78:79], v[74:75]
	v_fma_f64 v[78:79], v[139:140], s[10:11], v[106:107]
	v_mul_f64 v[114:115], v[171:172], s[38:39]
	v_mul_f64 v[134:135], v[187:188], s[38:39]
	v_add_f64 v[80:81], v[179:180], v[80:81]
	v_fma_f64 v[221:222], v[139:140], s[4:5], v[165:166]
	v_fma_f64 v[223:224], v[159:160], s[4:5], -v[175:176]
	v_mul_f64 v[173:174], v[171:172], s[34:35]
	v_mul_f64 v[179:180], v[187:188], s[34:35]
	v_add_f64 v[217:218], v[209:210], v[217:218]
	v_add_f64 v[219:220], v[219:220], v[199:200]
	v_fma_f64 v[225:226], v[139:140], s[30:31], v[193:194]
	v_fma_f64 v[227:228], v[159:160], s[30:31], -v[207:208]
	v_mul_f64 v[199:200], v[171:172], s[48:49]
	v_mul_f64 v[209:210], v[187:188], s[48:49]
	v_add_f64 v[2:3], v[72:73], v[2:3]
	v_fma_f64 v[72:73], v[167:168], s[30:31], v[96:97]
	v_fma_f64 v[82:83], v[177:178], s[30:31], -v[98:99]
	v_add_f64 v[74:75], v[78:79], v[74:75]
	v_fma_f64 v[78:79], v[167:168], s[6:7], v[114:115]
	v_fma_f64 v[213:214], v[177:178], s[6:7], -v[134:135]
	v_add_f64 v[221:222], v[221:222], v[80:81]
	v_add_f64 v[215:216], v[223:224], v[215:216]
	v_fma_f64 v[223:224], v[167:168], s[26:27], v[173:174]
	v_fma_f64 v[229:230], v[177:178], s[26:27], -v[179:180]
	v_add_f64 v[217:218], v[225:226], v[217:218]
	;; [unrolled: 4-line block ×3, first 2 shown]
	v_add_f64 v[2:3], v[82:83], v[2:3]
	v_add_f64 v[80:81], v[78:79], v[74:75]
	v_add_f64 v[82:83], v[213:214], v[76:77]
	v_add_f64 v[76:77], v[223:224], v[221:222]
	v_add_f64 v[78:79], v[229:230], v[215:216]
	v_add_f64 v[72:73], v[225:226], v[217:218]
	v_add_f64 v[74:75], v[227:228], v[219:220]
	v_mul_lo_u16_e32 v56, 13, v232
	buffer_store_dword v0, off, s[52:55], 0 ; 4-byte Folded Spill
	s_nop 0
	buffer_store_dword v1, off, s[52:55], 0 offset:4 ; 4-byte Folded Spill
	buffer_store_dword v2, off, s[52:55], 0 offset:8 ; 4-byte Folded Spill
	;; [unrolled: 1-line block ×3, first 2 shown]
	s_waitcnt lgkmcnt(0)
	; wave barrier
	buffer_store_dword v56, off, s[52:55], 0 offset:16 ; 4-byte Folded Spill
	s_and_saveexec_b64 s[24:25], s[0:1]
	s_cbranch_execz .LBB0_7
; %bb.6:
	v_mul_f64 v[213:214], v[90:91], s[30:31]
	v_mul_f64 v[215:216], v[112:113], s[40:41]
	;; [unrolled: 1-line block ×4, first 2 shown]
	v_mov_b32_e32 v0, v233
	v_mov_b32_e32 v1, v234
	v_mul_f64 v[233:234], v[126:127], s[26:27]
	v_mul_f64 v[235:236], v[151:152], s[34:35]
	v_fma_f64 v[219:220], v[92:93], s[46:47], v[213:214]
	v_fma_f64 v[227:228], v[86:87], s[30:31], v[215:216]
	;; [unrolled: 1-line block ×4, first 2 shown]
	v_mul_f64 v[243:244], v[132:133], s[4:5]
	v_mul_f64 v[245:246], v[169:170], s[48:49]
	v_fma_f64 v[213:214], v[92:93], s[40:41], v[213:214]
	v_fma_f64 v[247:248], v[137:138], s[36:37], v[233:234]
	v_add_f64 v[219:220], v[6:7], v[219:220]
	v_add_f64 v[227:228], v[4:5], v[227:228]
	v_mul_f64 v[241:242], v[159:160], s[18:19]
	v_fma_f64 v[215:216], v[86:87], s[30:31], -v[215:216]
	v_fma_f64 v[217:218], v[120:121], s[38:39], v[217:218]
	v_fma_f64 v[249:250], v[149:150], s[16:17], v[243:244]
	v_add_f64 v[213:214], v[6:7], v[213:214]
	v_mov_b32_e32 v56, v231
	v_add_f64 v[219:220], v[237:238], v[219:220]
	v_fma_f64 v[237:238], v[124:125], s[26:27], v[235:236]
	v_add_f64 v[227:228], v[239:240], v[227:228]
	v_mul_f64 v[239:240], v[181:182], s[22:23]
	v_mov_b32_e32 v57, v232
	v_mul_f64 v[231:232], v[177:178], s[10:11]
	v_fma_f64 v[225:226], v[108:109], s[6:7], -v[225:226]
	v_add_f64 v[215:216], v[4:5], v[215:216]
	v_add_f64 v[219:220], v[247:248], v[219:220]
	v_fma_f64 v[247:248], v[130:131], s[4:5], v[245:246]
	v_add_f64 v[227:228], v[237:238], v[227:228]
	v_mul_f64 v[237:238], v[171:172], s[42:43]
	v_add_f64 v[213:214], v[217:218], v[213:214]
	v_fma_f64 v[217:218], v[161:162], s[44:45], v[241:242]
	v_mul_f64 v[251:252], v[90:91], s[26:27]
	v_add_f64 v[225:226], v[225:226], v[215:216]
	v_add_f64 v[219:220], v[249:250], v[219:220]
	v_fma_f64 v[249:250], v[139:140], s[18:19], v[239:240]
	v_add_f64 v[227:228], v[247:248], v[227:228]
	v_fma_f64 v[215:216], v[137:138], s[34:35], v[233:234]
	v_mul_f64 v[112:113], v[112:113], s[34:35]
	v_fma_f64 v[233:234], v[167:168], s[10:11], v[237:238]
	v_mul_f64 v[247:248], v[110:111], s[10:11]
	v_fma_f64 v[243:244], v[149:150], s[48:49], v[243:244]
	v_add_f64 v[217:218], v[217:218], v[219:220]
	v_fma_f64 v[219:220], v[187:188], s[28:29], v[231:232]
	v_add_f64 v[227:228], v[249:250], v[227:228]
	v_fma_f64 v[235:236], v[124:125], s[26:27], -v[235:236]
	v_add_f64 v[249:250], v[215:216], v[213:214]
	v_mul_f64 v[141:142], v[141:142], s[42:43]
	v_fma_f64 v[241:242], v[161:162], s[22:23], v[241:242]
	v_fma_f64 v[245:246], v[130:131], s[4:5], -v[245:246]
	v_mul_f64 v[151:152], v[151:152], s[16:17]
	v_add_f64 v[215:216], v[219:220], v[217:218]
	v_add_f64 v[213:214], v[233:234], v[227:228]
	v_fma_f64 v[217:218], v[92:93], s[36:37], v[251:252]
	v_fma_f64 v[227:228], v[86:87], s[26:27], v[112:113]
	v_add_f64 v[219:220], v[235:236], v[225:226]
	v_add_f64 v[225:226], v[243:244], v[249:250]
	v_fma_f64 v[233:234], v[139:140], s[18:19], -v[239:240]
	v_fma_f64 v[239:240], v[120:121], s[28:29], v[247:248]
	v_fma_f64 v[243:244], v[108:109], s[10:11], v[141:142]
	;; [unrolled: 1-line block ×3, first 2 shown]
	v_add_f64 v[217:218], v[6:7], v[217:218]
	v_add_f64 v[227:228], v[4:5], v[227:228]
	v_mul_f64 v[235:236], v[126:127], s[4:5]
	v_add_f64 v[219:220], v[245:246], v[219:220]
	v_add_f64 v[225:226], v[241:242], v[225:226]
	v_mul_f64 v[169:170], v[169:170], s[46:47]
	v_fma_f64 v[237:238], v[167:168], s[10:11], -v[237:238]
	v_fma_f64 v[92:93], v[92:93], s[34:35], v[251:252]
	v_add_f64 v[217:218], v[239:240], v[217:218]
	v_fma_f64 v[239:240], v[124:125], s[4:5], v[151:152]
	v_add_f64 v[227:228], v[243:244], v[227:228]
	;; [unrolled: 2-line block ×3, first 2 shown]
	v_add_f64 v[219:220], v[231:232], v[225:226]
	v_mul_f64 v[221:222], v[86:87], s[6:7]
	v_mul_f64 v[229:230], v[86:87], s[4:5]
	;; [unrolled: 1-line block ×3, first 2 shown]
	v_fma_f64 v[120:121], v[120:121], s[42:43], v[247:248]
	v_add_f64 v[225:226], v[239:240], v[227:228]
	v_fma_f64 v[227:228], v[130:131], s[30:31], v[169:170]
	v_add_f64 v[245:246], v[245:246], v[217:218]
	v_add_f64 v[217:218], v[237:238], v[233:234]
	v_mul_f64 v[237:238], v[86:87], s[10:11]
	v_add_f64 v[92:93], v[6:7], v[92:93]
	v_mul_f64 v[223:224], v[90:91], s[6:7]
	v_mul_f64 v[243:244], v[159:160], s[6:7]
	v_fma_f64 v[249:250], v[149:150], s[40:41], v[241:242]
	v_add_f64 v[225:226], v[227:228], v[225:226]
	v_mul_f64 v[227:228], v[86:87], s[18:19]
	v_fma_f64 v[86:87], v[86:87], s[26:27], -v[112:113]
	v_mul_f64 v[253:254], v[90:91], s[4:5]
	v_mul_f64 v[181:182], v[181:182], s[38:39]
	;; [unrolled: 1-line block ×4, first 2 shown]
	v_fma_f64 v[136:137], v[137:138], s[16:17], v[235:236]
	v_add_f64 v[92:93], v[120:121], v[92:93]
	v_fma_f64 v[141:142], v[108:109], s[10:11], -v[141:142]
	v_add_f64 v[86:87], v[4:5], v[86:87]
	v_fma_f64 v[231:232], v[161:162], s[20:21], v[243:244]
	v_add_f64 v[233:234], v[249:250], v[245:246]
	v_fma_f64 v[245:246], v[139:140], s[6:7], v[181:182]
	v_mul_f64 v[247:248], v[110:111], s[4:5]
	v_mul_f64 v[112:113], v[110:111], s[18:19]
	v_fma_f64 v[149:150], v[149:150], s[46:47], v[241:242]
	v_mul_f64 v[241:242], v[110:111], s[30:31]
	v_mul_f64 v[110:111], v[110:111], s[26:27]
	v_add_f64 v[92:93], v[136:137], v[92:93]
	v_fma_f64 v[151:152], v[124:125], s[4:5], -v[151:152]
	v_add_f64 v[86:87], v[141:142], v[86:87]
	v_add_f64 v[90:91], v[201:202], v[90:91]
	v_add_f64 v[231:232], v[231:232], v[233:234]
	v_mul_f64 v[233:234], v[108:109], s[4:5]
	v_add_f64 v[225:226], v[245:246], v[225:226]
	v_mul_f64 v[245:246], v[108:109], s[18:19]
	v_mul_f64 v[235:236], v[108:109], s[30:31]
	;; [unrolled: 1-line block ×5, first 2 shown]
	v_fma_f64 v[161:162], v[161:162], s[38:39], v[243:244]
	v_add_f64 v[92:93], v[149:150], v[92:93]
	v_mul_f64 v[149:150], v[126:127], s[30:31]
	v_add_f64 v[86:87], v[151:152], v[86:87]
	v_mul_f64 v[151:152], v[126:127], s[18:19]
	v_mul_f64 v[126:127], v[126:127], s[6:7]
	v_add_f64 v[110:111], v[203:204], v[110:111]
	v_add_f64 v[90:91], v[6:7], v[90:91]
	v_add_f64 v[189:190], v[227:228], -v[189:190]
	v_fma_f64 v[136:137], v[187:188], s[44:45], v[120:121]
	v_fma_f64 v[120:121], v[187:188], s[22:23], v[120:121]
	v_mul_f64 v[187:188], v[124:125], s[10:11]
	v_mul_f64 v[243:244], v[124:125], s[30:31]
	;; [unrolled: 1-line block ×3, first 2 shown]
	v_fma_f64 v[169:170], v[130:131], s[30:31], -v[169:170]
	v_mul_f64 v[124:125], v[124:125], s[6:7]
	v_add_f64 v[92:93], v[161:162], v[92:93]
	v_mul_f64 v[161:162], v[132:133], s[10:11]
	v_add_f64 v[126:127], v[205:206], v[126:127]
	v_add_f64 v[90:91], v[110:111], v[90:91]
	v_add_f64 v[108:109], v[108:109], -v[191:192]
	v_add_f64 v[189:190], v[4:5], v[189:190]
	v_mul_f64 v[203:204], v[130:131], s[18:19]
	v_add_f64 v[86:87], v[169:170], v[86:87]
	v_mul_f64 v[205:206], v[130:131], s[26:27]
	v_fma_f64 v[181:182], v[139:140], s[6:7], -v[181:182]
	v_add_f64 v[161:162], v[211:212], v[161:162]
	v_mul_f64 v[211:212], v[159:160], s[30:31]
	v_mul_f64 v[227:228], v[130:131], s[6:7]
	;; [unrolled: 1-line block ×3, first 2 shown]
	v_add_f64 v[90:91], v[126:127], v[90:91]
	v_add_f64 v[124:125], v[124:125], -v[195:196]
	v_add_f64 v[108:109], v[108:109], v[189:190]
	v_mul_f64 v[126:127], v[139:140], s[26:27]
	v_add_f64 v[181:182], v[181:182], v[86:87]
	v_add_f64 v[86:87], v[207:208], v[211:212]
	v_mul_f64 v[207:208], v[139:140], s[10:11]
	v_mul_f64 v[195:196], v[139:140], s[4:5]
	v_add_f64 v[90:91], v[161:162], v[90:91]
	v_mul_f64 v[138:139], v[139:140], s[30:31]
	v_add_f64 v[130:131], v[130:131], -v[197:198]
	v_add_f64 v[108:109], v[124:125], v[108:109]
	v_add_f64 v[183:184], v[183:184], v[239:240]
	;; [unrolled: 1-line block ×4, first 2 shown]
	v_mul_f64 v[169:170], v[132:133], s[18:19]
	v_add_f64 v[211:212], v[86:87], v[90:91]
	v_add_f64 v[86:87], v[136:137], v[231:232]
	;; [unrolled: 1-line block ×3, first 2 shown]
	v_add_f64 v[92:93], v[138:139], -v[193:194]
	v_add_f64 v[120:121], v[130:131], v[108:109]
	v_add_f64 v[130:131], v[185:186], v[241:242]
	;; [unrolled: 1-line block ×3, first 2 shown]
	v_mul_f64 v[110:111], v[132:133], s[26:27]
	v_mul_f64 v[132:133], v[132:133], s[6:7]
	v_add_f64 v[18:19], v[6:7], v[18:19]
	v_add_f64 v[143:144], v[237:238], -v[143:144]
	v_add_f64 v[112:113], v[116:117], v[112:113]
	v_add_f64 v[92:93], v[92:93], v[120:121]
	;; [unrolled: 1-line block ×6, first 2 shown]
	v_mul_f64 v[249:250], v[159:160], s[26:27]
	v_mul_f64 v[161:162], v[159:160], s[10:11]
	;; [unrolled: 1-line block ×3, first 2 shown]
	v_add_f64 v[18:19], v[26:27], v[18:19]
	v_add_f64 v[24:25], v[163:164], v[132:133]
	v_add_f64 v[26:27], v[235:236], -v[147:148]
	v_add_f64 v[132:133], v[4:5], v[143:144]
	v_add_f64 v[120:121], v[120:121], v[130:131]
	;; [unrolled: 1-line block ×7, first 2 shown]
	v_add_f64 v[18:19], v[201:202], -v[153:154]
	v_add_f64 v[26:27], v[26:27], v[132:133]
	v_add_f64 v[24:25], v[24:25], v[120:121]
	;; [unrolled: 1-line block ×7, first 2 shown]
	v_mov_b32_e32 v232, v57
	v_add_f64 v[18:19], v[18:19], v[26:27]
	v_add_f64 v[16:17], v[16:17], v[24:25]
	;; [unrolled: 1-line block ×6, first 2 shown]
	v_mov_b32_e32 v231, v56
	v_add_f64 v[56:57], v[62:63], v[247:248]
	v_add_f64 v[6:7], v[6:7], v[58:59]
	v_add_f64 v[58:59], v[233:234], -v[60:61]
	v_mul_f64 v[191:192], v[177:178], s[4:5]
	v_add_f64 v[24:25], v[24:25], v[26:27]
	v_add_f64 v[8:9], v[36:37], v[8:9]
	v_add_f64 v[26:27], v[221:222], -v[0:1]
	v_add_f64 v[10:11], v[38:39], v[10:11]
	v_add_f64 v[36:37], v[229:230], -v[94:95]
	v_add_f64 v[6:7], v[56:57], v[6:7]
	v_mul_f64 v[189:190], v[167:168], s[30:31]
	v_add_f64 v[191:192], v[209:210], v[191:192]
	v_mul_f64 v[209:210], v[177:178], s[30:31]
	v_add_f64 v[8:9], v[20:21], v[8:9]
	v_add_f64 v[20:21], v[4:5], v[26:27]
	v_add_f64 v[10:11], v[22:23], v[10:11]
	v_add_f64 v[4:5], v[4:5], v[36:37]
	v_add_f64 v[26:27], v[66:67], v[141:142]
	v_add_f64 v[36:37], v[187:188], -v[64:65]
	v_mul_f64 v[197:198], v[177:178], s[6:7]
	v_mul_f64 v[177:178], v[177:178], s[26:27]
	v_add_f64 v[38:39], v[245:246], -v[100:101]
	v_add_f64 v[20:21], v[58:59], v[20:21]
	v_add_f64 v[10:11], v[30:31], v[10:11]
	;; [unrolled: 1-line block ×4, first 2 shown]
	v_add_f64 v[26:27], v[203:204], -v[68:69]
	v_add_f64 v[8:9], v[28:29], v[8:9]
	v_add_f64 v[12:13], v[179:180], v[177:178]
	;; [unrolled: 1-line block ×5, first 2 shown]
	v_add_f64 v[38:39], v[189:190], -v[96:97]
	v_add_f64 v[6:7], v[30:31], v[6:7]
	v_add_f64 v[30:31], v[126:127], -v[84:85]
	v_add_f64 v[22:23], v[243:244], -v[102:103]
	v_add_f64 v[10:11], v[42:43], v[10:11]
	v_add_f64 v[8:9], v[40:41], v[8:9]
	;; [unrolled: 1-line block ×3, first 2 shown]
	v_add_f64 v[28:29], v[205:206], -v[104:105]
	v_add_f64 v[14:15], v[227:228], -v[155:156]
	v_add_f64 v[36:37], v[36:37], v[6:7]
	v_add_f64 v[6:7], v[12:13], v[16:17]
	;; [unrolled: 1-line block ×3, first 2 shown]
	v_mul_f64 v[171:172], v[171:172], s[22:23]
	v_add_f64 v[10:11], v[50:51], v[10:11]
	v_add_f64 v[20:21], v[30:31], v[20:21]
	;; [unrolled: 1-line block ×3, first 2 shown]
	v_mul_f64 v[251:252], v[167:168], s[6:7]
	v_add_f64 v[22:23], v[207:208], -v[106:107]
	v_mul_f64 v[124:125], v[167:168], s[26:27]
	v_add_f64 v[4:5], v[28:29], v[4:5]
	v_add_f64 v[34:35], v[195:196], -v[165:166]
	v_add_f64 v[14:15], v[14:15], v[18:19]
	v_add_f64 v[12:13], v[38:39], v[20:21]
	buffer_load_dword v20, off, s[52:55], 0 offset:16 ; 4-byte Folded Reload
	v_fma_f64 v[239:240], v[167:168], s[18:19], v[171:172]
	v_fma_f64 v[171:172], v[167:168], s[18:19], -v[171:172]
	v_mul_f64 v[167:168], v[167:168], s[4:5]
	v_add_f64 v[18:19], v[134:135], v[197:198]
	v_add_f64 v[40:41], v[46:47], v[10:11]
	;; [unrolled: 1-line block ×4, first 2 shown]
	v_add_f64 v[26:27], v[251:252], -v[114:115]
	v_add_f64 v[4:5], v[22:23], v[4:5]
	v_add_f64 v[32:33], v[124:125], -v[173:174]
	v_add_f64 v[22:23], v[34:35], v[14:15]
	;; [unrolled: 2-line block ×3, first 2 shown]
	v_add_f64 v[18:19], v[54:55], v[40:41]
	v_add_f64 v[16:17], v[52:53], v[8:9]
	;; [unrolled: 1-line block ×9, first 2 shown]
	s_waitcnt vmcnt(0)
	v_lshlrev_b32_e32 v20, 4, v20
	ds_write_b128 v20, v[16:19]
	ds_write_b128 v20, v[12:15] offset:16
	ds_write_b128 v20, v[8:11] offset:32
	ds_write_b128 v20, v[4:7] offset:48
	ds_write_b128 v20, v[106:109] offset:64
	ds_write_b128 v20, v[88:91] offset:80
	ds_write_b128 v20, v[217:220] offset:96
	ds_write_b128 v20, v[213:216] offset:112
	ds_write_b128 v20, v[84:87] offset:128
	ds_write_b128 v20, v[72:75] offset:144
	ds_write_b128 v20, v[76:79] offset:160
	ds_write_b128 v20, v[80:83] offset:176
	buffer_load_dword v0, off, s[52:55], 0  ; 4-byte Folded Reload
	buffer_load_dword v1, off, s[52:55], 0 offset:4 ; 4-byte Folded Reload
	buffer_load_dword v2, off, s[52:55], 0 offset:8 ; 4-byte Folded Reload
	;; [unrolled: 1-line block ×3, first 2 shown]
	s_waitcnt vmcnt(0)
	ds_write_b128 v20, v[0:3] offset:192
.LBB0_7:
	s_or_b64 exec, exec, s[24:25]
	s_load_dwordx4 s[4:7], s[2:3], 0x0
	s_movk_i32 s2, 0x4f
	v_mul_lo_u16_sdwa v4, v232, s2 dst_sel:DWORD dst_unused:UNUSED_PAD src0_sel:BYTE_0 src1_sel:DWORD
	v_lshrrev_b16_e32 v132, 10, v4
	v_mul_lo_u16_e32 v4, 13, v132
	v_sub_u16_e32 v4, v232, v4
	v_and_b32_e32 v133, 0xff, v4
	v_lshlrev_b32_e32 v36, 7, v133
	s_waitcnt lgkmcnt(0)
	; wave barrier
	s_waitcnt lgkmcnt(0)
	global_load_dwordx4 v[16:19], v36, s[8:9]
	global_load_dwordx4 v[12:15], v36, s[8:9] offset:16
	global_load_dwordx4 v[8:11], v36, s[8:9] offset:32
	;; [unrolled: 1-line block ×7, first 2 shown]
	ds_read_b128 v[36:39], v255
	ds_read_b128 v[40:43], v255 offset:832
	ds_read_b128 v[44:47], v255 offset:1664
	;; [unrolled: 1-line block ×8, first 2 shown]
	s_mov_b32 s26, 0xa2cf5039
	s_mov_b32 s17, 0x3fe491b7
	;; [unrolled: 1-line block ×16, first 2 shown]
	s_waitcnt lgkmcnt(0)
	; wave barrier
	s_waitcnt vmcnt(7) lgkmcnt(0)
	v_mul_f64 v[84:85], v[42:43], v[18:19]
	v_mul_f64 v[86:87], v[40:41], v[18:19]
	s_waitcnt vmcnt(6)
	v_mul_f64 v[88:89], v[46:47], v[14:15]
	v_mul_f64 v[90:91], v[44:45], v[14:15]
	s_waitcnt vmcnt(5)
	;; [unrolled: 3-line block ×3, first 2 shown]
	v_mul_f64 v[96:97], v[54:55], v[6:7]
	s_waitcnt vmcnt(0)
	v_mul_f64 v[112:113], v[70:71], v[34:35]
	v_mul_f64 v[114:115], v[68:69], v[34:35]
	;; [unrolled: 1-line block ×9, first 2 shown]
	v_fma_f64 v[40:41], v[40:41], v[16:17], -v[84:85]
	v_fma_f64 v[42:43], v[42:43], v[16:17], v[86:87]
	v_fma_f64 v[68:69], v[68:69], v[32:33], -v[112:113]
	v_fma_f64 v[70:71], v[70:71], v[32:33], v[114:115]
	;; [unrolled: 2-line block ×8, first 2 shown]
	v_add_f64 v[88:89], v[40:41], v[68:69]
	v_add_f64 v[90:91], v[42:43], v[70:71]
	v_add_f64 v[68:69], v[40:41], -v[68:69]
	v_add_f64 v[70:71], v[42:43], -v[70:71]
	v_add_f64 v[84:85], v[44:45], v[64:65]
	v_add_f64 v[86:87], v[46:47], v[66:67]
	;; [unrolled: 1-line block ×4, first 2 shown]
	v_add_f64 v[40:41], v[44:45], -v[64:65]
	v_add_f64 v[42:43], v[46:47], -v[66:67]
	v_add_f64 v[44:45], v[48:49], -v[60:61]
	v_add_f64 v[46:47], v[50:51], -v[62:63]
	v_add_f64 v[48:49], v[52:53], -v[56:57]
	v_add_f64 v[50:51], v[52:53], v[56:57]
	v_add_f64 v[60:61], v[54:55], v[58:59]
	v_add_f64 v[62:63], v[54:55], -v[58:59]
	v_mul_f64 v[64:65], v[68:69], s[16:17]
	v_mul_f64 v[66:67], v[70:71], s[16:17]
	v_fma_f64 v[98:99], v[90:91], s[26:27], v[38:39]
	s_mov_b32 s17, 0xbfe491b7
	v_fma_f64 v[96:97], v[88:89], s[26:27], v[36:37]
	v_fma_f64 v[100:101], v[50:51], s[26:27], v[36:37]
	;; [unrolled: 1-line block ×3, first 2 shown]
	v_mul_f64 v[124:125], v[48:49], s[16:17]
	v_mul_f64 v[126:127], v[62:63], s[16:17]
	v_fma_f64 v[64:65], v[40:41], s[18:19], v[64:65]
	v_fma_f64 v[66:67], v[42:43], s[18:19], v[66:67]
	;; [unrolled: 1-line block ×10, first 2 shown]
	v_fma_f64 v[98:99], v[94:95], -0.5, v[98:99]
	v_add_f64 v[104:105], v[48:49], v[68:69]
	v_add_f64 v[106:107], v[62:63], v[70:71]
	;; [unrolled: 1-line block ×4, first 2 shown]
	v_mul_f64 v[116:117], v[48:49], s[18:19]
	v_mul_f64 v[118:119], v[62:63], s[18:19]
	v_fma_f64 v[120:121], v[84:85], s[26:27], v[36:37]
	v_fma_f64 v[122:123], v[86:87], s[26:27], v[38:39]
	v_fma_f64 v[96:97], v[92:93], -0.5, v[96:97]
	v_fma_f64 v[100:101], v[92:93], -0.5, v[100:101]
	;; [unrolled: 1-line block ×3, first 2 shown]
	v_fma_f64 v[124:125], v[44:45], s[24:25], v[124:125]
	v_fma_f64 v[126:127], v[46:47], s[24:25], v[126:127]
	;; [unrolled: 1-line block ×5, first 2 shown]
	v_add_f64 v[106:107], v[106:107], -v[42:43]
	v_add_f64 v[128:129], v[50:51], v[112:113]
	v_add_f64 v[130:131], v[60:61], v[114:115]
	v_fma_f64 v[116:117], v[40:41], s[16:17], -v[116:117]
	v_fma_f64 v[118:119], v[42:43], s[16:17], -v[118:119]
	v_fma_f64 v[64:65], v[50:51], s[20:21], v[96:97]
	v_fma_f64 v[84:85], v[84:85], s[20:21], v[100:101]
	;; [unrolled: 1-line block ×5, first 2 shown]
	v_add_f64 v[42:43], v[66:67], -v[48:49]
	v_fma_f64 v[50:51], v[50:51], s[22:23], v[120:121]
	v_fma_f64 v[60:61], v[60:61], s[22:23], v[122:123]
	v_add_f64 v[96:97], v[92:93], v[112:113]
	v_add_f64 v[98:99], v[94:95], v[114:115]
	v_add_f64 v[104:105], v[104:105], -v[40:41]
	v_add_f64 v[40:41], v[62:63], v[64:65]
	v_fma_f64 v[64:65], v[44:45], s[2:3], v[116:117]
	v_fma_f64 v[66:67], v[46:47], s[2:3], v[118:119]
	v_add_f64 v[46:47], v[86:87], -v[102:103]
	v_fma_f64 v[86:87], v[48:49], 2.0, v[42:43]
	v_fma_f64 v[48:49], v[92:93], -0.5, v[50:51]
	v_fma_f64 v[50:51], v[94:95], -0.5, v[60:61]
	v_add_f64 v[108:109], v[36:37], v[92:93]
	v_add_f64 v[110:111], v[38:39], v[94:95]
	;; [unrolled: 1-line block ×4, first 2 shown]
	v_fma_f64 v[68:69], v[68:69], s[10:11], v[64:65]
	v_fma_f64 v[64:65], v[70:71], s[10:11], v[66:67]
	;; [unrolled: 1-line block ×4, first 2 shown]
	v_add_f64 v[44:45], v[100:101], v[84:85]
	v_fma_f64 v[84:85], v[62:63], -2.0, v[40:41]
	v_fma_f64 v[60:61], v[128:129], -0.5, v[108:109]
	;; [unrolled: 1-line block ×3, first 2 shown]
	v_add_f64 v[92:93], v[56:57], v[52:53]
	v_add_f64 v[94:95], v[58:59], v[54:55]
	;; [unrolled: 1-line block ×3, first 2 shown]
	v_add_f64 v[54:55], v[70:71], -v[68:69]
	v_mul_f64 v[88:89], v[104:105], s[2:3]
	v_mul_f64 v[90:91], v[106:107], s[2:3]
	v_fma_f64 v[48:49], v[106:107], s[2:3], v[60:61]
	v_fma_f64 v[50:51], v[104:105], s[24:25], v[62:63]
	v_add_f64 v[36:37], v[36:37], v[92:93]
	v_add_f64 v[38:39], v[38:39], v[94:95]
	v_fma_f64 v[64:65], v[64:65], -2.0, v[52:53]
	v_fma_f64 v[66:67], v[68:69], 2.0, v[54:55]
	v_mul_u32_u24_e32 v68, 0x75, v132
	v_fma_f64 v[56:57], v[100:101], -2.0, v[44:45]
	v_fma_f64 v[60:61], v[90:91], -2.0, v[48:49]
	v_fma_f64 v[62:63], v[88:89], 2.0, v[50:51]
	v_fma_f64 v[58:59], v[102:103], 2.0, v[46:47]
	v_add_lshl_u32 v136, v68, v133, 4
	ds_write_b128 v136, v[36:39]
	ds_write_b128 v136, v[40:43] offset:208
	ds_write_b128 v136, v[44:47] offset:416
	;; [unrolled: 1-line block ×8, first 2 shown]
	s_waitcnt lgkmcnt(0)
	; wave barrier
	s_waitcnt lgkmcnt(0)
	ds_read_b128 v[92:95], v255
	ds_read_b128 v[88:91], v255 offset:832
	ds_read_b128 v[108:111], v255 offset:1872
	;; [unrolled: 1-line block ×7, first 2 shown]
	v_cmp_gt_u16_e64 s[2:3], 13, v232
	s_and_saveexec_b64 s[10:11], s[2:3]
	s_cbranch_execz .LBB0_9
; %bb.8:
	ds_read_b128 v[84:87], v255 offset:1664
	ds_read_b128 v[72:75], v255 offset:3536
	;; [unrolled: 1-line block ×4, first 2 shown]
.LBB0_9:
	s_or_b64 exec, exec, s[10:11]
	v_add_u32_e32 v36, 0x68, v232
	v_add_u32_e32 v37, -13, v232
	v_mad_u64_u32 v[64:65], s[10:11], v232, 48, s[8:9]
	v_cndmask_b32_e64 v36, v37, v36, s[2:3]
	v_mul_hi_i32_i24_e32 v37, 48, v36
	v_mul_i32_i24_e32 v36, 48, v36
	v_mov_b32_e32 v38, s9
	v_add_co_u32_e32 v66, vcc, s8, v36
	s_movk_i32 s11, 0x1000
	v_addc_co_u32_e32 v67, vcc, v38, v37, vcc
	v_add_co_u32_e32 v68, vcc, s11, v64
	s_movk_i32 s10, 0x1040
	v_addc_co_u32_e32 v69, vcc, 0, v65, vcc
	v_add_co_u32_e32 v120, vcc, s10, v64
	v_addc_co_u32_e32 v121, vcc, 0, v65, vcc
	global_load_dwordx4 v[48:51], v[64:65], off offset:1696
	global_load_dwordx4 v[52:55], v[64:65], off offset:1680
	;; [unrolled: 1-line block ×7, first 2 shown]
	s_nop 0
	global_load_dwordx4 v[68:71], v[120:121], off offset:16
	global_load_dwordx4 v[64:67], v[120:121], off offset:32
	s_waitcnt vmcnt(8) lgkmcnt(1)
	v_mul_f64 v[128:129], v[118:119], v[50:51]
	s_waitcnt vmcnt(7)
	v_mul_f64 v[124:125], v[114:115], v[54:55]
	s_waitcnt vmcnt(6)
	v_mul_f64 v[120:121], v[110:111], v[58:59]
	v_mul_f64 v[122:123], v[108:109], v[58:59]
	;; [unrolled: 1-line block ×4, first 2 shown]
	s_waitcnt vmcnt(4)
	v_mul_f64 v[132:133], v[74:75], v[175:176]
	v_mul_f64 v[134:135], v[72:73], v[175:176]
	;; [unrolled: 1-line block ×4, first 2 shown]
	s_waitcnt vmcnt(2) lgkmcnt(0)
	v_mul_f64 v[141:142], v[82:83], v[187:188]
	v_mul_f64 v[143:144], v[80:81], v[187:188]
	;; [unrolled: 1-line block ×4, first 2 shown]
	s_waitcnt vmcnt(1)
	v_mul_f64 v[149:150], v[102:103], v[70:71]
	v_mul_f64 v[151:152], v[100:101], v[70:71]
	s_waitcnt vmcnt(0)
	v_mul_f64 v[153:154], v[106:107], v[66:67]
	v_mul_f64 v[155:156], v[104:105], v[66:67]
	v_fma_f64 v[108:109], v[108:109], v[56:57], -v[120:121]
	v_fma_f64 v[110:111], v[110:111], v[56:57], v[122:123]
	v_fma_f64 v[112:113], v[112:113], v[52:53], -v[124:125]
	v_fma_f64 v[114:115], v[114:115], v[52:53], v[126:127]
	;; [unrolled: 2-line block ×9, first 2 shown]
	v_add_f64 v[112:113], v[92:93], -v[112:113]
	v_add_f64 v[114:115], v[94:95], -v[114:115]
	;; [unrolled: 1-line block ×12, first 2 shown]
	v_fma_f64 v[128:129], v[92:93], 2.0, -v[112:113]
	v_fma_f64 v[130:131], v[94:95], 2.0, -v[114:115]
	;; [unrolled: 1-line block ×4, first 2 shown]
	v_add_f64 v[76:77], v[112:113], -v[118:119]
	v_add_f64 v[78:79], v[114:115], v[116:117]
	v_fma_f64 v[116:117], v[84:85], 2.0, -v[120:121]
	v_fma_f64 v[118:119], v[86:87], 2.0, -v[122:123]
	;; [unrolled: 1-line block ×8, first 2 shown]
	v_add_f64 v[92:93], v[120:121], -v[82:83]
	v_add_f64 v[94:95], v[122:123], v[80:81]
	v_add_f64 v[88:89], v[124:125], -v[102:103]
	v_add_f64 v[90:91], v[126:127], v[100:101]
	v_add_f64 v[84:85], v[128:129], -v[104:105]
	v_add_f64 v[86:87], v[130:131], -v[106:107]
	;; [unrolled: 1-line block ×6, first 2 shown]
	v_fma_f64 v[80:81], v[112:113], 2.0, -v[76:77]
	v_fma_f64 v[82:83], v[114:115], 2.0, -v[78:79]
	;; [unrolled: 1-line block ×12, first 2 shown]
	ds_write_b128 v255, v[76:79] offset:5616
	ds_write_b128 v255, v[80:83] offset:1872
	;; [unrolled: 1-line block ×5, first 2 shown]
	ds_write_b128 v255, v[72:75]
	ds_write_b128 v255, v[112:115] offset:832
	ds_write_b128 v255, v[88:91] offset:6448
	s_and_saveexec_b64 s[8:9], s[2:3]
	s_cbranch_execz .LBB0_11
; %bb.10:
	ds_write_b128 v255, v[116:119] offset:1664
	ds_write_b128 v255, v[100:103] offset:3536
	;; [unrolled: 1-line block ×4, first 2 shown]
.LBB0_11:
	s_or_b64 exec, exec, s[8:9]
	s_waitcnt lgkmcnt(0)
	; wave barrier
	s_waitcnt lgkmcnt(0)
	s_and_saveexec_b64 s[8:9], s[0:1]
	s_cbranch_execz .LBB0_13
; %bb.12:
	v_add_co_u32_e32 v36, vcc, s14, v255
	v_mov_b32_e32 v37, s15
	v_addc_co_u32_e32 v37, vcc, 0, v37, vcc
	v_add_co_u32_e32 v132, vcc, 0x1d40, v36
	v_addc_co_u32_e32 v133, vcc, 0, v37, vcc
	v_add_co_u32_e32 v124, vcc, 0x1000, v36
	v_addc_co_u32_e32 v125, vcc, 0, v37, vcc
	global_load_dwordx4 v[124:127], v[124:125], off offset:3392
	ds_read_b128 v[120:123], v255
	s_movk_i32 s10, 0x2000
	s_waitcnt vmcnt(0) lgkmcnt(0)
	v_mul_f64 v[128:129], v[122:123], v[126:127]
	v_fma_f64 v[128:129], v[120:121], v[124:125], -v[128:129]
	v_mul_f64 v[120:121], v[120:121], v[126:127]
	v_fma_f64 v[130:131], v[122:123], v[124:125], v[120:121]
	global_load_dwordx4 v[124:127], v[132:133], off offset:576
	ds_read_b128 v[120:123], v255 offset:576
	ds_write_b128 v255, v[128:131]
	s_waitcnt vmcnt(0) lgkmcnt(1)
	v_mul_f64 v[128:129], v[122:123], v[126:127]
	v_fma_f64 v[128:129], v[120:121], v[124:125], -v[128:129]
	v_mul_f64 v[120:121], v[120:121], v[126:127]
	v_fma_f64 v[130:131], v[122:123], v[124:125], v[120:121]
	global_load_dwordx4 v[124:127], v[132:133], off offset:1152
	ds_read_b128 v[120:123], v255 offset:1152
	ds_write_b128 v255, v[128:131] offset:576
	s_waitcnt vmcnt(0) lgkmcnt(1)
	v_mul_f64 v[128:129], v[122:123], v[126:127]
	v_fma_f64 v[128:129], v[120:121], v[124:125], -v[128:129]
	v_mul_f64 v[120:121], v[120:121], v[126:127]
	v_fma_f64 v[130:131], v[122:123], v[124:125], v[120:121]
	global_load_dwordx4 v[124:127], v[132:133], off offset:1728
	ds_read_b128 v[120:123], v255 offset:1728
	ds_write_b128 v255, v[128:131] offset:1152
	;; [unrolled: 8-line block ×6, first 2 shown]
	s_waitcnt vmcnt(0) lgkmcnt(1)
	v_mul_f64 v[128:129], v[122:123], v[126:127]
	v_fma_f64 v[128:129], v[120:121], v[124:125], -v[128:129]
	v_mul_f64 v[120:121], v[120:121], v[126:127]
	v_fma_f64 v[130:131], v[122:123], v[124:125], v[120:121]
	v_add_co_u32_e32 v124, vcc, s10, v36
	v_addc_co_u32_e32 v125, vcc, 0, v37, vcc
	global_load_dwordx4 v[124:127], v[124:125], off offset:3904
	ds_read_b128 v[120:123], v255 offset:4608
	s_movk_i32 s10, 0x3000
	ds_write_b128 v255, v[128:131] offset:4032
	v_add_co_u32_e32 v132, vcc, s10, v36
	v_addc_co_u32_e32 v133, vcc, 0, v37, vcc
	s_waitcnt vmcnt(0) lgkmcnt(1)
	v_mul_f64 v[128:129], v[122:123], v[126:127]
	v_fma_f64 v[128:129], v[120:121], v[124:125], -v[128:129]
	v_mul_f64 v[120:121], v[120:121], v[126:127]
	v_fma_f64 v[130:131], v[122:123], v[124:125], v[120:121]
	global_load_dwordx4 v[124:127], v[132:133], off offset:384
	ds_read_b128 v[120:123], v255 offset:5184
	ds_write_b128 v255, v[128:131] offset:4608
	s_waitcnt vmcnt(0) lgkmcnt(1)
	v_mul_f64 v[128:129], v[122:123], v[126:127]
	v_fma_f64 v[128:129], v[120:121], v[124:125], -v[128:129]
	v_mul_f64 v[120:121], v[120:121], v[126:127]
	v_fma_f64 v[130:131], v[122:123], v[124:125], v[120:121]
	global_load_dwordx4 v[124:127], v[132:133], off offset:960
	ds_read_b128 v[120:123], v255 offset:5760
	ds_write_b128 v255, v[128:131] offset:5184
	;; [unrolled: 8-line block ×4, first 2 shown]
	s_waitcnt vmcnt(0) lgkmcnt(1)
	v_mul_f64 v[128:129], v[122:123], v[126:127]
	v_fma_f64 v[128:129], v[120:121], v[124:125], -v[128:129]
	v_mul_f64 v[120:121], v[120:121], v[126:127]
	v_fma_f64 v[130:131], v[122:123], v[124:125], v[120:121]
	ds_write_b128 v255, v[128:131] offset:6912
.LBB0_13:
	s_or_b64 exec, exec, s[8:9]
	s_waitcnt lgkmcnt(0)
	; wave barrier
	s_waitcnt lgkmcnt(0)
	s_and_saveexec_b64 s[8:9], s[0:1]
	s_cbranch_execz .LBB0_15
; %bb.14:
	ds_read_b128 v[72:75], v255
	ds_read_b128 v[80:83], v255 offset:576
	ds_read_b128 v[84:87], v255 offset:1152
	;; [unrolled: 1-line block ×12, first 2 shown]
	s_waitcnt lgkmcnt(0)
	buffer_store_dword v0, off, s[52:55], 0 ; 4-byte Folded Spill
	s_nop 0
	buffer_store_dword v1, off, s[52:55], 0 offset:4 ; 4-byte Folded Spill
	buffer_store_dword v2, off, s[52:55], 0 offset:8 ; 4-byte Folded Spill
	;; [unrolled: 1-line block ×3, first 2 shown]
.LBB0_15:
	s_or_b64 exec, exec, s[8:9]
	buffer_load_dword v0, off, s[52:55], 0  ; 4-byte Folded Reload
	buffer_load_dword v1, off, s[52:55], 0 offset:4 ; 4-byte Folded Reload
	buffer_load_dword v2, off, s[52:55], 0 offset:8 ; 4-byte Folded Reload
	buffer_load_dword v3, off, s[52:55], 0 offset:12 ; 4-byte Folded Reload
	s_mov_b32 s10, 0x42a4c3d2
	s_mov_b32 s11, 0xbfea55e2
	;; [unrolled: 1-line block ×6, first 2 shown]
	v_add_f64 v[143:144], v[92:93], v[84:85]
	v_add_f64 v[145:146], v[94:95], v[86:87]
	s_mov_b32 s18, 0x66966769
	s_mov_b32 s20, 0xb2365da1
	;; [unrolled: 1-line block ×4, first 2 shown]
	v_add_f64 v[157:158], v[84:85], -v[92:93]
	s_mov_b32 s16, 0xebaa3ed8
	s_mov_b32 s28, 0x4bc48dbf
	v_mul_f64 v[46:47], v[145:146], s[20:21]
	s_mov_b32 s17, 0x3fbedb7d
	s_mov_b32 s29, 0xbfcea1e5
	;; [unrolled: 1-line block ×4, first 2 shown]
	v_mul_f64 v[243:244], v[145:146], s[24:25]
	s_mov_b32 s26, 0xd0032e0c
	s_mov_b32 s27, 0xbfe7f3cc
	v_mul_f64 v[235:236], v[145:146], s[26:27]
	v_add_f64 v[161:162], v[78:79], -v[106:107]
	v_add_f64 v[155:156], v[76:77], v[104:105]
	v_add_f64 v[159:160], v[78:79], v[106:107]
	v_add_f64 v[163:164], v[76:77], -v[104:105]
	s_mov_b32 s41, 0x3fedeba7
	s_mov_b32 s40, s22
	;; [unrolled: 1-line block ×4, first 2 shown]
	v_mul_f64 v[134:135], v[161:162], s[28:29]
	v_mul_f64 v[169:170], v[161:162], s[40:41]
	;; [unrolled: 1-line block ×5, first 2 shown]
	s_mov_b32 s30, 0xe00740e9
	s_mov_b32 s31, 0x3fec55a7
	v_mul_f64 v[249:250], v[159:160], s[30:31]
	v_add_f64 v[183:184], v[114:115], -v[102:103]
	v_add_f64 v[171:172], v[112:113], v[100:101]
	v_add_f64 v[177:178], v[114:115], v[102:103]
	v_add_f64 v[181:182], v[112:113], -v[100:101]
	v_add_f64 v[205:206], v[110:111], -v[118:119]
	s_mov_b32 s45, 0x3fefc445
	s_mov_b32 s44, s18
	v_add_f64 v[191:192], v[116:117], v[108:109]
	v_mul_f64 v[153:154], v[183:184], s[36:37]
	v_mul_f64 v[207:208], v[183:184], s[34:35]
	;; [unrolled: 1-line block ×6, first 2 shown]
	v_add_f64 v[197:198], v[118:119], v[110:111]
	v_mul_f64 v[203:204], v[205:206], s[44:45]
	v_add_f64 v[201:202], v[108:109], -v[116:117]
	v_mul_f64 v[225:226], v[205:206], s[10:11]
	s_mov_b32 s46, s28
	v_mul_f64 v[149:150], v[205:206], s[46:47]
	v_add_f64 v[223:224], v[98:99], -v[90:91]
	v_add_f64 v[213:214], v[88:89], v[96:97]
	v_mul_f64 v[211:212], v[197:198], s[16:17]
	v_mul_f64 v[227:228], v[197:198], s[8:9]
	;; [unrolled: 1-line block ×3, first 2 shown]
	v_add_f64 v[217:218], v[90:91], v[98:99]
	v_add_f64 v[221:222], v[96:97], -v[88:89]
	s_mov_b32 s43, 0xbfe5384d
	v_mul_f64 v[215:216], v[223:224], s[34:35]
	s_mov_b32 s42, s36
	v_mul_f64 v[239:240], v[223:224], s[42:43]
	;; [unrolled: 2-line block ×3, first 2 shown]
	v_mul_f64 v[237:238], v[217:218], s[30:31]
	v_mul_f64 v[241:242], v[217:218], s[26:27]
	;; [unrolled: 1-line block ×3, first 2 shown]
	s_waitcnt lgkmcnt(0)
	; wave barrier
	s_waitcnt vmcnt(0)
	v_add_f64 v[38:39], v[82:83], -v[2:3]
	v_add_f64 v[137:138], v[0:1], v[80:81]
	v_add_f64 v[139:140], v[2:3], v[82:83]
	v_add_f64 v[2:3], v[86:87], -v[94:95]
	v_add_f64 v[147:148], v[80:81], -v[0:1]
	v_mul_f64 v[40:41], v[38:39], s[10:11]
	v_mul_f64 v[193:194], v[38:39], s[18:19]
	;; [unrolled: 1-line block ×8, first 2 shown]
	v_fma_f64 v[120:121], v[137:138], s[8:9], -v[40:41]
	v_fma_f64 v[124:125], v[137:138], s[16:17], -v[193:194]
	v_fma_f64 v[122:123], v[147:148], s[10:11], v[42:43]
	v_fma_f64 v[132:133], v[143:144], s[20:21], -v[44:45]
	v_fma_f64 v[126:127], v[147:148], s[18:19], v[0:1]
	v_mul_f64 v[247:248], v[2:3], s[36:37]
	v_fma_f64 v[128:129], v[137:138], s[20:21], -v[245:246]
	v_fma_f64 v[130:131], v[147:148], s[22:23], v[233:234]
	v_add_f64 v[120:121], v[72:73], v[120:121]
	v_add_f64 v[124:125], v[72:73], v[124:125]
	;; [unrolled: 1-line block ×7, first 2 shown]
	v_fma_f64 v[132:133], v[157:158], s[22:23], v[46:47]
	v_add_f64 v[122:123], v[132:133], v[122:123]
	v_fma_f64 v[132:133], v[143:144], s[24:25], -v[199:200]
	v_add_f64 v[124:125], v[132:133], v[124:125]
	v_fma_f64 v[132:133], v[157:158], s[28:29], v[243:244]
	v_add_f64 v[126:127], v[132:133], v[126:127]
	v_fma_f64 v[132:133], v[143:144], s[26:27], -v[247:248]
	v_add_f64 v[128:129], v[132:133], v[128:129]
	;; [unrolled: 4-line block ×14, first 2 shown]
	v_fma_f64 v[132:133], v[221:222], s[48:49], v[151:152]
	v_add_f64 v[130:131], v[132:133], v[130:131]
	s_and_saveexec_b64 s[38:39], s[0:1]
	s_cbranch_execz .LBB0_17
; %bb.16:
	v_mul_f64 v[251:252], v[137:138], s[8:9]
	v_mul_f64 v[132:133], v[147:148], s[28:29]
	v_add_f64 v[82:83], v[74:75], v[82:83]
	v_add_f64 v[80:81], v[72:73], v[80:81]
	buffer_store_dword v251, off, s[52:55], 0 offset:132 ; 4-byte Folded Spill
	s_nop 0
	buffer_store_dword v252, off, s[52:55], 0 offset:136 ; 4-byte Folded Spill
	v_mul_f64 v[251:252], v[147:148], s[10:11]
	v_add_f64 v[82:83], v[86:87], v[82:83]
	v_add_f64 v[80:81], v[84:85], v[80:81]
	buffer_store_dword v251, off, s[52:55], 0 offset:148 ; 4-byte Folded Spill
	s_nop 0
	buffer_store_dword v252, off, s[52:55], 0 offset:152 ; 4-byte Folded Spill
	buffer_store_dword v134, off, s[52:55], 0 offset:84 ; 4-byte Folded Spill
	s_nop 0
	buffer_store_dword v135, off, s[52:55], 0 offset:88 ; 4-byte Folded Spill
	v_mul_f64 v[251:252], v[137:138], s[16:17]
	v_mul_f64 v[134:135], v[38:39], s[28:29]
	v_add_f64 v[76:77], v[76:77], v[80:81]
	v_add_f64 v[78:79], v[78:79], v[82:83]
	v_mul_f64 v[82:83], v[201:202], s[42:43]
	buffer_store_dword v251, off, s[52:55], 0 offset:212 ; 4-byte Folded Spill
	s_nop 0
	buffer_store_dword v252, off, s[52:55], 0 offset:216 ; 4-byte Folded Spill
	v_mul_f64 v[251:252], v[147:148], s[18:19]
	v_add_f64 v[112:113], v[112:113], v[76:77]
	v_add_f64 v[78:79], v[114:115], v[78:79]
	v_fma_f64 v[114:115], v[197:198], s[26:27], v[82:83]
	v_fma_f64 v[82:83], v[197:198], s[26:27], -v[82:83]
	buffer_store_dword v251, off, s[52:55], 0 offset:244 ; 4-byte Folded Spill
	s_nop 0
	buffer_store_dword v252, off, s[52:55], 0 offset:248 ; 4-byte Folded Spill
	buffer_store_dword v165, off, s[52:55], 0 offset:20 ; 4-byte Folded Spill
	s_nop 0
	buffer_store_dword v166, off, s[52:55], 0 offset:24 ; 4-byte Folded Spill
	buffer_store_dword v167, off, s[52:55], 0 offset:28 ; 4-byte Folded Spill
	;; [unrolled: 1-line block ×4, first 2 shown]
	s_nop 0
	buffer_store_dword v186, off, s[52:55], 0 offset:56 ; 4-byte Folded Spill
	buffer_store_dword v187, off, s[52:55], 0 offset:60 ; 4-byte Folded Spill
	;; [unrolled: 1-line block ×3, first 2 shown]
	v_mul_f64 v[187:188], v[143:144], s[20:21]
	buffer_store_dword v173, off, s[52:55], 0 offset:36 ; 4-byte Folded Spill
	s_nop 0
	buffer_store_dword v174, off, s[52:55], 0 offset:40 ; 4-byte Folded Spill
	buffer_store_dword v175, off, s[52:55], 0 offset:44 ; 4-byte Folded Spill
	;; [unrolled: 1-line block ×3, first 2 shown]
	v_mul_f64 v[165:166], v[157:158], s[34:35]
	v_fma_f64 v[167:168], v[139:140], s[24:25], v[132:133]
	v_mul_f64 v[173:174], v[2:3], s[34:35]
	v_fma_f64 v[175:176], v[137:138], s[24:25], -v[134:135]
	buffer_store_dword v187, off, s[52:55], 0 offset:140 ; 4-byte Folded Spill
	s_nop 0
	buffer_store_dword v188, off, s[52:55], 0 offset:144 ; 4-byte Folded Spill
	v_mul_f64 v[187:188], v[157:158], s[22:23]
	v_fma_f64 v[132:133], v[139:140], s[24:25], -v[132:133]
	v_add_f64 v[167:168], v[74:75], v[167:168]
	v_fma_f64 v[134:135], v[137:138], s[24:25], v[134:135]
	v_add_f64 v[175:176], v[72:73], v[175:176]
	v_mul_f64 v[185:186], v[147:148], s[22:23]
	buffer_store_dword v187, off, s[52:55], 0 offset:180 ; 4-byte Folded Spill
	s_nop 0
	buffer_store_dword v188, off, s[52:55], 0 offset:184 ; 4-byte Folded Spill
	buffer_store_dword v237, off, s[52:55], 0 offset:156 ; 4-byte Folded Spill
	s_nop 0
	buffer_store_dword v238, off, s[52:55], 0 offset:160 ; 4-byte Folded Spill
	v_mov_b32_e32 v238, v190
	v_mul_f64 v[187:188], v[163:164], s[42:43]
	v_mov_b32_e32 v237, v189
	v_fma_f64 v[189:190], v[145:146], s[30:31], v[165:166]
	buffer_store_dword v239, off, s[52:55], 0 offset:188 ; 4-byte Folded Spill
	s_nop 0
	buffer_store_dword v240, off, s[52:55], 0 offset:192 ; 4-byte Folded Spill
	buffer_store_dword v195, off, s[52:55], 0 offset:220 ; 4-byte Folded Spill
	s_nop 0
	buffer_store_dword v196, off, s[52:55], 0 offset:224 ; 4-byte Folded Spill
	;; [unrolled: 3-line block ×3, first 2 shown]
	v_mov_b32_e32 v240, v194
	v_mov_b32_e32 v242, v200
	buffer_store_dword v203, off, s[52:55], 0 offset:92 ; 4-byte Folded Spill
	s_nop 0
	buffer_store_dword v204, off, s[52:55], 0 offset:96 ; 4-byte Folded Spill
	buffer_store_dword v207, off, s[52:55], 0 offset:204 ; 4-byte Folded Spill
	s_nop 0
	buffer_store_dword v208, off, s[52:55], 0 offset:208 ; 4-byte Folded Spill
	;; [unrolled: 3-line block ×3, first 2 shown]
	v_mov_b32_e32 v239, v193
	v_mul_f64 v[193:194], v[161:162], s[42:43]
	v_fma_f64 v[195:196], v[143:144], s[30:31], -v[173:174]
	v_mov_b32_e32 v241, v199
	v_mul_f64 v[199:200], v[181:182], s[48:49]
	v_fma_f64 v[153:154], v[159:160], s[26:27], v[187:188]
	v_add_f64 v[167:168], v[189:190], v[167:168]
	buffer_store_dword v209, off, s[52:55], 0 offset:228 ; 4-byte Folded Spill
	s_nop 0
	buffer_store_dword v210, off, s[52:55], 0 offset:232 ; 4-byte Folded Spill
	buffer_store_dword v211, off, s[52:55], 0 offset:172 ; 4-byte Folded Spill
	s_nop 0
	buffer_store_dword v212, off, s[52:55], 0 offset:176 ; 4-byte Folded Spill
	v_mul_f64 v[203:204], v[201:202], s[22:23]
	v_mul_f64 v[207:208], v[183:184], s[48:49]
	v_fma_f64 v[189:190], v[155:156], s[26:27], -v[193:194]
	v_add_f64 v[175:176], v[195:196], v[175:176]
	v_fma_f64 v[211:212], v[177:178], s[8:9], v[199:200]
	v_add_f64 v[153:154], v[153:154], v[167:168]
	v_fma_f64 v[165:166], v[145:146], s[30:31], -v[165:166]
	v_add_f64 v[132:133], v[74:75], v[132:133]
	buffer_store_dword v215, off, s[52:55], 0 offset:108 ; 4-byte Folded Spill
	s_nop 0
	buffer_store_dword v216, off, s[52:55], 0 offset:112 ; 4-byte Folded Spill
	v_mul_f64 v[195:196], v[221:222], s[44:45]
	v_mul_f64 v[209:210], v[205:206], s[22:23]
	v_fma_f64 v[215:216], v[171:172], s[8:9], -v[207:208]
	v_add_f64 v[167:168], v[189:190], v[175:176]
	v_fma_f64 v[189:190], v[197:198], s[20:21], v[203:204]
	v_fma_f64 v[187:188], v[159:160], s[26:27], -v[187:188]
	v_add_f64 v[153:154], v[211:212], v[153:154]
	v_add_f64 v[132:133], v[165:166], v[132:133]
	buffer_store_dword v219, off, s[52:55], 0 offset:236 ; 4-byte Folded Spill
	s_nop 0
	buffer_store_dword v220, off, s[52:55], 0 offset:240 ; 4-byte Folded Spill
	v_mul_f64 v[175:176], v[223:224], s[44:45]
	v_fma_f64 v[219:220], v[191:192], s[20:21], -v[209:210]
	v_add_f64 v[165:166], v[215:216], v[167:168]
	v_fma_f64 v[167:168], v[217:218], s[16:17], v[195:196]
	v_fma_f64 v[199:200], v[177:178], s[8:9], -v[199:200]
	v_fma_f64 v[173:174], v[143:144], s[30:31], v[173:174]
	v_add_f64 v[153:154], v[189:190], v[153:154]
	v_add_f64 v[189:190], v[72:73], v[134:135]
	v_add_f64 v[132:133], v[187:188], v[132:133]
	v_fma_f64 v[211:212], v[213:214], s[16:17], -v[175:176]
	v_add_f64 v[165:166], v[219:220], v[165:166]
	v_mul_f64 v[215:216], v[147:148], s[42:43]
	v_fma_f64 v[203:204], v[197:198], s[20:21], -v[203:204]
	v_fma_f64 v[193:194], v[155:156], s[26:27], v[193:194]
	v_add_f64 v[134:135], v[167:168], v[153:154]
	v_add_f64 v[153:154], v[173:174], v[189:190]
	;; [unrolled: 1-line block ×3, first 2 shown]
	v_mul_f64 v[173:174], v[38:39], s[42:43]
	v_add_f64 v[132:133], v[211:212], v[165:166]
	v_fma_f64 v[165:166], v[217:218], s[16:17], -v[195:196]
	v_fma_f64 v[189:190], v[171:172], s[8:9], v[207:208]
	v_mul_f64 v[195:196], v[157:158], s[44:45]
	v_fma_f64 v[199:200], v[139:140], s[26:27], v[215:216]
	v_add_f64 v[153:154], v[193:194], v[153:154]
	v_add_f64 v[167:168], v[203:204], v[167:168]
	v_mul_f64 v[193:194], v[2:3], s[44:45]
	v_fma_f64 v[203:204], v[137:138], s[26:27], -v[173:174]
	v_fma_f64 v[173:174], v[137:138], s[26:27], v[173:174]
	v_fma_f64 v[207:208], v[191:192], s[20:21], v[209:210]
	;; [unrolled: 1-line block ×3, first 2 shown]
	v_add_f64 v[199:200], v[74:75], v[199:200]
	v_add_f64 v[153:154], v[189:190], v[153:154]
	v_mul_f64 v[189:190], v[161:162], s[10:11]
	v_fma_f64 v[219:220], v[143:144], s[16:17], -v[193:194]
	v_fma_f64 v[193:194], v[143:144], s[16:17], v[193:194]
	v_add_f64 v[173:174], v[72:73], v[173:174]
	v_fma_f64 v[175:176], v[213:214], s[16:17], v[175:176]
	v_add_f64 v[167:168], v[165:166], v[167:168]
	v_add_f64 v[199:200], v[211:212], v[199:200]
	;; [unrolled: 1-line block ×3, first 2 shown]
	v_mul_f64 v[207:208], v[183:184], s[46:47]
	v_fma_f64 v[211:212], v[155:156], s[8:9], -v[189:190]
	v_fma_f64 v[189:190], v[155:156], s[8:9], v[189:190]
	v_add_f64 v[193:194], v[193:194], v[173:174]
	buffer_store_dword v132, off, s[52:55], 0 offset:68 ; 4-byte Folded Spill
	s_nop 0
	buffer_store_dword v133, off, s[52:55], 0 offset:72 ; 4-byte Folded Spill
	buffer_store_dword v134, off, s[52:55], 0 offset:76 ; 4-byte Folded Spill
	;; [unrolled: 1-line block ×3, first 2 shown]
	v_mul_f64 v[134:135], v[155:156], s[24:25]
	buffer_store_dword v225, off, s[52:55], 0 offset:276 ; 4-byte Folded Spill
	s_nop 0
	buffer_store_dword v226, off, s[52:55], 0 offset:280 ; 4-byte Folded Spill
	v_add_f64 v[165:166], v[175:176], v[153:154]
	v_fma_f64 v[175:176], v[171:172], s[24:25], -v[207:208]
	v_fma_f64 v[207:208], v[171:172], s[24:25], v[207:208]
	buffer_store_dword v179, off, s[52:55], 0 offset:260 ; 4-byte Folded Spill
	s_nop 0
	buffer_store_dword v180, off, s[52:55], 0 offset:264 ; 4-byte Folded Spill
	v_add_f64 v[189:190], v[189:190], v[193:194]
	buffer_store_dword v2, off, s[52:55], 0 offset:164 ; 4-byte Folded Spill
	s_nop 0
	buffer_store_dword v3, off, s[52:55], 0 offset:168 ; 4-byte Folded Spill
	buffer_store_dword v165, off, s[52:55], 0 offset:116 ; 4-byte Folded Spill
	s_nop 0
	buffer_store_dword v166, off, s[52:55], 0 offset:120 ; 4-byte Folded Spill
	buffer_store_dword v167, off, s[52:55], 0 offset:124 ; 4-byte Folded Spill
	;; [unrolled: 1-line block ×4, first 2 shown]
	s_nop 0
	buffer_store_dword v135, off, s[52:55], 0 offset:256 ; 4-byte Folded Spill
	v_mul_f64 v[209:210], v[163:164], s[10:11]
	v_add_f64 v[203:204], v[72:73], v[203:204]
	v_add_f64 v[189:190], v[207:208], v[189:190]
	v_mul_f64 v[207:208], v[181:182], s[18:19]
	v_mul_f64 v[225:226], v[181:182], s[46:47]
	v_mov_b32_e32 v132, v169
	v_mov_b32_e32 v133, v170
	v_mul_f64 v[153:154], v[205:206], s[34:35]
	v_fma_f64 v[179:180], v[159:160], s[8:9], v[209:210]
	v_add_f64 v[203:204], v[219:220], v[203:204]
	v_fma_f64 v[195:196], v[145:146], s[16:17], -v[195:196]
	v_add_f64 v[207:208], v[36:37], -v[207:208]
	v_mul_f64 v[36:37], v[191:192], s[16:17]
	buffer_store_dword v36, off, s[52:55], 0 offset:268 ; 4-byte Folded Spill
	s_nop 0
	buffer_store_dword v37, off, s[52:55], 0 offset:272 ; 4-byte Folded Spill
	buffer_load_dword v36, off, s[52:55], 0 offset:244 ; 4-byte Folded Reload
	s_nop 0
	buffer_load_dword v37, off, s[52:55], 0 offset:248 ; 4-byte Folded Reload
	v_add_f64 v[179:180], v[179:180], v[199:200]
	v_add_f64 v[199:200], v[211:212], v[203:204]
	v_fma_f64 v[211:212], v[139:140], s[26:27], -v[215:216]
	v_fma_f64 v[169:170], v[177:178], s[24:25], v[225:226]
	v_mov_b32_e32 v2, v149
	v_mov_b32_e32 v3, v150
	;; [unrolled: 1-line block ×4, first 2 shown]
	v_fma_f64 v[227:228], v[191:192], s[30:31], -v[153:154]
	v_add_f64 v[175:176], v[175:176], v[199:200]
	v_add_f64 v[199:200], v[74:75], v[211:212]
	v_add_f64 v[169:170], v[169:170], v[179:180]
	v_mul_f64 v[179:180], v[223:224], s[22:23]
	v_fma_f64 v[209:210], v[159:160], s[8:9], -v[209:210]
	v_mul_f64 v[219:220], v[201:202], s[34:35]
	v_mov_b32_e32 v167, v229
	v_mov_b32_e32 v166, v142
	v_add_f64 v[227:228], v[227:228], v[175:176]
	v_add_f64 v[195:196], v[195:196], v[199:200]
	v_mov_b32_e32 v168, v230
	v_fma_f64 v[229:230], v[213:214], s[20:21], -v[179:180]
	v_mov_b32_e32 v165, v141
	v_mov_b32_e32 v141, v231
	;; [unrolled: 1-line block ×3, first 2 shown]
	v_mul_f64 v[231:232], v[157:158], s[36:37]
	v_fma_f64 v[225:226], v[177:178], s[24:25], -v[225:226]
	v_add_f64 v[195:196], v[209:210], v[195:196]
	v_add_f64 v[185:186], v[233:234], -v[185:186]
	v_mul_f64 v[203:204], v[221:222], s[22:23]
	v_fma_f64 v[215:216], v[197:198], s[30:31], v[219:220]
	v_add_f64 v[173:174], v[229:230], v[227:228]
	v_fma_f64 v[153:154], v[191:192], s[30:31], v[153:154]
	v_add_f64 v[229:230], v[235:236], -v[231:232]
	v_mul_f64 v[251:252], v[137:138], s[20:21]
	v_add_f64 v[195:196], v[225:226], v[195:196]
	v_mul_f64 v[225:226], v[163:164], s[34:35]
	v_add_f64 v[185:186], v[74:75], v[185:186]
	v_add_f64 v[169:170], v[215:216], v[169:170]
	v_fma_f64 v[215:216], v[217:218], s[20:21], v[203:204]
	v_mul_f64 v[193:194], v[163:164], s[40:41]
	v_add_f64 v[189:190], v[153:154], v[189:190]
	v_mul_f64 v[211:212], v[157:158], s[28:29]
	v_mul_f64 v[199:200], v[143:144], s[26:27]
	v_add_f64 v[225:226], v[249:250], -v[225:226]
	v_add_f64 v[185:186], v[229:230], v[185:186]
	v_mul_f64 v[187:188], v[143:144], s[24:25]
	v_add_f64 v[175:176], v[215:216], v[169:170]
	v_mov_b32_e32 v170, v39
	v_mov_b32_e32 v169, v38
	v_mul_f64 v[209:210], v[155:156], s[20:21]
	v_add_f64 v[199:200], v[199:200], v[247:248]
	v_mov_b32_e32 v248, v45
	v_add_f64 v[38:39], v[225:226], v[185:186]
	v_add_f64 v[225:226], v[251:252], v[245:246]
	buffer_load_dword v249, off, s[52:55], 0 ; 4-byte Folded Reload
	buffer_load_dword v250, off, s[52:55], 0 offset:4 ; 4-byte Folded Reload
	buffer_load_dword v251, off, s[52:55], 0 offset:8 ; 4-byte Folded Reload
	;; [unrolled: 1-line block ×3, first 2 shown]
	v_mov_b32_e32 v246, v43
	v_mov_b32_e32 v245, v42
	v_add_f64 v[42:43], v[243:244], -v[211:212]
	v_fma_f64 v[219:220], v[197:198], s[30:31], -v[219:220]
	v_mov_b32_e32 v247, v44
	v_mul_f64 v[44:45], v[201:202], s[46:47]
	v_add_f64 v[187:188], v[187:188], v[241:242]
	v_mul_f64 v[211:212], v[191:192], s[24:25]
	v_add_f64 v[38:39], v[207:208], v[38:39]
	v_mul_f64 v[229:230], v[181:182], s[34:35]
	v_mov_b32_e32 v135, v41
	v_add_f64 v[195:196], v[219:220], v[195:196]
	v_mov_b32_e32 v134, v40
	v_add_f64 v[44:45], v[167:168], -v[44:45]
	v_mul_f64 v[40:41], v[201:202], s[10:11]
	v_mul_f64 v[185:186], v[191:192], s[8:9]
	v_add_f64 v[225:226], v[72:73], v[225:226]
	v_fma_f64 v[179:180], v[213:214], s[20:21], v[179:180]
	v_mul_f64 v[243:244], v[213:214], s[26:27]
	v_mul_f64 v[227:228], v[155:156], s[30:31]
	;; [unrolled: 1-line block ×3, first 2 shown]
	v_add_f64 v[38:39], v[44:45], v[38:39]
	v_add_f64 v[40:41], v[149:150], -v[40:41]
	v_mul_f64 v[233:234], v[171:172], s[30:31]
	s_waitcnt vmcnt(4)
	v_add_f64 v[153:154], v[0:1], -v[36:37]
	v_mov_b32_e32 v0, v46
	v_mov_b32_e32 v1, v47
	v_add_f64 v[46:47], v[237:238], -v[193:194]
	buffer_load_dword v237, off, s[52:55], 0 offset:212 ; 4-byte Folded Reload
	buffer_load_dword v238, off, s[52:55], 0 offset:216 ; 4-byte Folded Reload
	;; [unrolled: 1-line block ×4, first 2 shown]
	v_add_f64 v[199:200], v[199:200], v[225:226]
	v_mul_f64 v[225:226], v[221:222], s[48:49]
	v_add_f64 v[153:154], v[74:75], v[153:154]
	v_mul_f64 v[36:37], v[201:202], s[44:45]
	v_mul_f64 v[219:220], v[181:182], s[36:37]
	v_mul_f64 v[215:216], v[163:164], s[28:29]
	v_mul_f64 v[231:232], v[171:172], s[26:27]
	v_mul_f64 v[193:194], v[213:214], s[30:31]
	v_mul_f64 v[157:158], v[157:158], s[10:11]
	v_mul_f64 v[163:164], v[163:164], s[18:19]
	v_add_f64 v[42:43], v[42:43], v[153:154]
	v_fma_f64 v[153:154], v[217:218], s[20:21], -v[203:204]
	v_mul_f64 v[203:204], v[221:222], s[42:43]
	v_mul_f64 v[181:182], v[181:182], s[22:23]
	v_add_f64 v[78:79], v[110:111], v[78:79]
	v_mul_f64 v[110:111], v[223:224], s[28:29]
	v_add_f64 v[42:43], v[46:47], v[42:43]
	v_add_f64 v[46:47], v[209:210], v[132:133]
	;; [unrolled: 1-line block ×3, first 2 shown]
	buffer_load_dword v195, off, s[52:55], 0 offset:228 ; 4-byte Folded Reload
	buffer_load_dword v196, off, s[52:55], 0 offset:232 ; 4-byte Folded Reload
	buffer_load_dword v132, off, s[52:55], 0 offset:236 ; 4-byte Folded Reload
	buffer_load_dword v133, off, s[52:55], 0 offset:240 ; 4-byte Folded Reload
	buffer_load_dword v44, off, s[52:55], 0 offset:204 ; 4-byte Folded Reload
	buffer_load_dword v45, off, s[52:55], 0 offset:208 ; 4-byte Folded Reload
	v_add_f64 v[78:79], v[98:99], v[78:79]
	v_mul_f64 v[98:99], v[161:162], s[18:19]
	v_add_f64 v[78:79], v[90:91], v[78:79]
	v_add_f64 v[78:79], v[118:119], v[78:79]
	;; [unrolled: 1-line block ×5, first 2 shown]
	s_waitcnt vmcnt(8)
	v_add_f64 v[237:238], v[237:238], v[239:240]
	s_waitcnt vmcnt(6)
	v_add_f64 v[227:228], v[227:228], v[241:242]
	v_mul_f64 v[239:240], v[221:222], s[34:35]
	s_mov_b32 s35, 0xbfddbe06
	v_mul_f64 v[147:148], v[147:148], s[34:35]
	v_mul_f64 v[241:242], v[213:214], s[8:9]
	v_add_f64 v[237:238], v[72:73], v[237:238]
	v_add_f64 v[199:200], v[227:228], v[199:200]
	;; [unrolled: 1-line block ×3, first 2 shown]
	s_waitcnt vmcnt(4)
	v_add_f64 v[195:196], v[195:196], -v[229:230]
	v_add_f64 v[46:47], v[46:47], v[187:188]
	v_add_f64 v[187:188], v[211:212], v[2:3]
	buffer_load_dword v2, off, s[52:55], 0 offset:196 ; 4-byte Folded Reload
	buffer_load_dword v3, off, s[52:55], 0 offset:200 ; 4-byte Folded Reload
	s_waitcnt vmcnt(4)
	v_add_f64 v[207:208], v[235:236], v[132:133]
	s_waitcnt vmcnt(2)
	v_add_f64 v[44:45], v[233:234], v[44:45]
	v_add_f64 v[42:43], v[195:196], v[42:43]
	v_add_f64 v[195:196], v[151:152], -v[225:226]
	v_add_f64 v[151:152], v[179:180], v[189:190]
	v_add_f64 v[199:200], v[207:208], v[199:200]
	;; [unrolled: 1-line block ×3, first 2 shown]
	v_fma_f64 v[207:208], v[139:140], s[30:31], v[147:148]
	v_fma_f64 v[139:140], v[139:140], s[30:31], -v[147:148]
	v_add_f64 v[40:41], v[40:41], v[42:43]
	v_add_f64 v[179:180], v[195:196], v[38:39]
	;; [unrolled: 1-line block ×4, first 2 shown]
	v_add_f64 v[199:200], v[165:166], -v[215:216]
	v_add_f64 v[207:208], v[74:75], v[207:208]
	s_waitcnt vmcnt(0)
	v_add_f64 v[203:204], v[2:3], -v[203:204]
	buffer_load_dword v2, off, s[52:55], 0 offset:276 ; 4-byte Folded Reload
	buffer_load_dword v3, off, s[52:55], 0 offset:280 ; 4-byte Folded Reload
	s_waitcnt vmcnt(0)
	v_add_f64 v[42:43], v[185:186], v[2:3]
	buffer_load_dword v2, off, s[52:55], 0 offset:148 ; 4-byte Folded Reload
	buffer_load_dword v3, off, s[52:55], 0 offset:152 ; 4-byte Folded Reload
	v_add_f64 v[185:186], v[203:204], v[40:41]
	v_add_f64 v[42:43], v[42:43], v[44:45]
	s_waitcnt vmcnt(0)
	v_add_f64 v[189:190], v[245:246], -v[2:3]
	buffer_load_dword v2, off, s[52:55], 0 offset:188 ; 4-byte Folded Reload
	buffer_load_dword v3, off, s[52:55], 0 offset:192 ; 4-byte Folded Reload
	v_add_f64 v[189:190], v[74:75], v[189:190]
	v_add_f64 v[74:75], v[74:75], v[139:140]
	s_waitcnt vmcnt(0)
	v_add_f64 v[40:41], v[243:244], v[2:3]
	buffer_load_dword v2, off, s[52:55], 0 offset:180 ; 4-byte Folded Reload
	buffer_load_dword v3, off, s[52:55], 0 offset:184 ; 4-byte Folded Reload
	s_waitcnt vmcnt(0)
	v_add_f64 v[187:188], v[0:1], -v[2:3]
	buffer_load_dword v0, off, s[52:55], 0 offset:132 ; 4-byte Folded Reload
	buffer_load_dword v1, off, s[52:55], 0 offset:136 ; 4-byte Folded Reload
	v_add_f64 v[187:188], v[187:188], v[189:190]
	v_add_f64 v[187:188], v[199:200], v[187:188]
	s_waitcnt vmcnt(0)
	v_add_f64 v[44:45], v[0:1], v[134:135]
	buffer_load_dword v0, off, s[52:55], 0 offset:156 ; 4-byte Folded Reload
	buffer_load_dword v1, off, s[52:55], 0 offset:160 ; 4-byte Folded Reload
	v_add_f64 v[44:45], v[72:73], v[44:45]
	s_waitcnt vmcnt(0)
	v_add_f64 v[195:196], v[0:1], -v[239:240]
	buffer_load_dword v0, off, s[52:55], 0 offset:172 ; 4-byte Folded Reload
	buffer_load_dword v1, off, s[52:55], 0 offset:176 ; 4-byte Folded Reload
	s_waitcnt vmcnt(0)
	v_add_f64 v[36:37], v[0:1], -v[36:37]
	buffer_load_dword v0, off, s[52:55], 0 offset:140 ; 4-byte Folded Reload
	buffer_load_dword v1, off, s[52:55], 0 offset:144 ; 4-byte Folded Reload
	s_waitcnt vmcnt(0)
	v_add_f64 v[189:190], v[0:1], v[247:248]
	buffer_load_dword v0, off, s[52:55], 0 offset:260 ; 4-byte Folded Reload
	buffer_load_dword v1, off, s[52:55], 0 offset:264 ; 4-byte Folded Reload
	v_add_f64 v[44:45], v[189:190], v[44:45]
	v_fma_f64 v[189:190], v[145:146], s[8:9], v[157:158]
	v_add_f64 v[189:190], v[189:190], v[207:208]
	s_waitcnt vmcnt(0)
	v_add_f64 v[203:204], v[0:1], -v[219:220]
	buffer_load_dword v0, off, s[52:55], 0 offset:84 ; 4-byte Folded Reload
	buffer_load_dword v1, off, s[52:55], 0 offset:88 ; 4-byte Folded Reload
	;; [unrolled: 1-line block ×4, first 2 shown]
	v_add_f64 v[84:85], v[203:204], v[187:188]
	v_fma_f64 v[187:188], v[159:160], s[16:17], v[163:164]
	v_add_f64 v[36:37], v[36:37], v[84:85]
	v_fma_f64 v[84:85], v[177:178], s[20:21], v[181:182]
	v_add_f64 v[76:77], v[195:196], v[36:37]
	s_waitcnt vmcnt(0)
	v_add_f64 v[199:200], v[2:3], v[0:1]
	buffer_load_dword v0, off, s[52:55], 0 offset:100 ; 4-byte Folded Reload
	buffer_load_dword v1, off, s[52:55], 0 offset:104 ; 4-byte Folded Reload
	v_add_f64 v[44:45], v[199:200], v[44:45]
	s_waitcnt vmcnt(0)
	v_add_f64 v[86:87], v[231:232], v[0:1]
	buffer_load_dword v0, off, s[52:55], 0 offset:92 ; 4-byte Folded Reload
	buffer_load_dword v1, off, s[52:55], 0 offset:96 ; 4-byte Folded Reload
	;; [unrolled: 1-line block ×4, first 2 shown]
	v_mov_b32_e32 v232, v142
	v_mov_b32_e32 v231, v141
	v_mul_f64 v[141:142], v[183:184], s[22:23]
	v_add_f64 v[183:184], v[40:41], v[42:43]
	v_add_f64 v[44:45], v[86:87], v[44:45]
	;; [unrolled: 1-line block ×5, first 2 shown]
	v_mul_f64 v[108:109], v[169:170], s[34:35]
	v_mul_f64 v[112:113], v[205:206], s[42:43]
	v_add_f64 v[84:85], v[114:115], v[84:85]
	v_add_f64 v[86:87], v[96:97], v[86:87]
	v_fma_f64 v[96:97], v[137:138], s[30:31], v[108:109]
	v_fma_f64 v[108:109], v[137:138], s[30:31], -v[108:109]
	v_fma_f64 v[137:138], v[145:146], s[8:9], -v[157:158]
	v_add_f64 v[86:87], v[88:89], v[86:87]
	v_add_f64 v[88:89], v[72:73], v[96:97]
	;; [unrolled: 1-line block ×3, first 2 shown]
	v_fma_f64 v[96:97], v[159:160], s[16:17], -v[163:164]
	v_add_f64 v[74:75], v[137:138], v[74:75]
	v_fma_f64 v[108:109], v[155:156], s[16:17], v[98:99]
	v_fma_f64 v[98:99], v[155:156], s[16:17], -v[98:99]
	v_add_f64 v[86:87], v[116:117], v[86:87]
	v_add_f64 v[74:75], v[96:97], v[74:75]
	v_fma_f64 v[96:97], v[171:172], s[20:21], v[141:142]
	v_add_f64 v[86:87], v[100:101], v[86:87]
	v_fma_f64 v[100:101], v[171:172], s[20:21], -v[141:142]
	v_add_f64 v[86:87], v[104:105], v[86:87]
	v_add_f64 v[86:87], v[92:93], v[86:87]
	v_fma_f64 v[92:93], v[213:214], s[24:25], -v[110:111]
	s_waitcnt vmcnt(0)
	v_add_f64 v[80:81], v[2:3], v[0:1]
	buffer_load_dword v0, off, s[52:55], 0 offset:108 ; 4-byte Folded Reload
	buffer_load_dword v1, off, s[52:55], 0 offset:112 ; 4-byte Folded Reload
	v_add_f64 v[2:3], v[251:252], v[78:79]
	v_add_f64 v[44:45], v[80:81], v[44:45]
	v_mul_f64 v[80:81], v[221:222], s[28:29]
	s_waitcnt vmcnt(0)
	v_add_f64 v[36:37], v[193:194], v[0:1]
	buffer_load_dword v0, off, s[52:55], 0 offset:164 ; 4-byte Folded Reload
	buffer_load_dword v1, off, s[52:55], 0 offset:168 ; 4-byte Folded Reload
	s_waitcnt vmcnt(0)
	v_mul_f64 v[147:148], v[0:1], s[10:11]
	v_add_f64 v[0:1], v[249:250], v[86:87]
	v_fma_f64 v[139:140], v[143:144], s[8:9], v[147:148]
	v_fma_f64 v[90:91], v[143:144], s[8:9], -v[147:148]
	v_add_f64 v[88:89], v[139:140], v[88:89]
	v_add_f64 v[72:73], v[90:91], v[72:73]
	v_fma_f64 v[90:91], v[177:178], s[20:21], -v[181:182]
	v_add_f64 v[177:178], v[38:39], v[46:47]
	v_add_f64 v[88:89], v[108:109], v[88:89]
	;; [unrolled: 1-line block ×4, first 2 shown]
	v_fma_f64 v[90:91], v[191:192], s[26:27], v[112:113]
	v_fma_f64 v[98:99], v[217:218], s[24:25], -v[80:81]
	v_add_f64 v[88:89], v[96:97], v[88:89]
	v_fma_f64 v[96:97], v[191:192], s[26:27], -v[112:113]
	v_add_f64 v[74:75], v[82:83], v[74:75]
	v_fma_f64 v[82:83], v[213:214], s[24:25], v[110:111]
	v_add_f64 v[72:73], v[100:101], v[72:73]
	v_add_f64 v[88:89], v[90:91], v[88:89]
	v_fma_f64 v[90:91], v[217:218], s[24:25], v[80:81]
	v_add_f64 v[80:81], v[98:99], v[74:75]
	v_add_f64 v[74:75], v[36:37], v[44:45]
	buffer_load_dword v36, off, s[52:55], 0 offset:16 ; 4-byte Folded Reload
	v_add_f64 v[72:73], v[96:97], v[72:73]
	v_add_f64 v[78:79], v[82:83], v[88:89]
	;; [unrolled: 1-line block ×4, first 2 shown]
	s_waitcnt vmcnt(0)
	v_lshlrev_b32_e32 v36, 4, v36
	ds_write_b128 v36, v[0:3]
	ds_write_b128 v36, v[78:81] offset:16
	ds_write_b128 v36, v[74:77] offset:32
	;; [unrolled: 1-line block ×3, first 2 shown]
	buffer_load_dword v185, off, s[52:55], 0 offset:52 ; 4-byte Folded Reload
	buffer_load_dword v186, off, s[52:55], 0 offset:56 ; 4-byte Folded Reload
	;; [unrolled: 1-line block ×4, first 2 shown]
	ds_write_b128 v36, v[177:180] offset:64
	ds_write_b128 v36, v[151:154] offset:80
	buffer_load_dword v0, off, s[52:55], 0 offset:116 ; 4-byte Folded Reload
	buffer_load_dword v1, off, s[52:55], 0 offset:120 ; 4-byte Folded Reload
	;; [unrolled: 1-line block ×4, first 2 shown]
	s_waitcnt vmcnt(0)
	ds_write_b128 v36, v[0:3] offset:96
	buffer_load_dword v165, off, s[52:55], 0 offset:20 ; 4-byte Folded Reload
	buffer_load_dword v166, off, s[52:55], 0 offset:24 ; 4-byte Folded Reload
	;; [unrolled: 1-line block ×8, first 2 shown]
	s_waitcnt vmcnt(0)
	ds_write_b128 v36, v[0:3] offset:112
	ds_write_b128 v36, v[173:176] offset:128
	buffer_load_dword v173, off, s[52:55], 0 offset:36 ; 4-byte Folded Reload
	buffer_load_dword v174, off, s[52:55], 0 offset:40 ; 4-byte Folded Reload
	;; [unrolled: 1-line block ×4, first 2 shown]
	ds_write_b128 v36, v[128:131] offset:144
	ds_write_b128 v36, v[124:127] offset:160
	ds_write_b128 v36, v[120:123] offset:176
	ds_write_b128 v36, v[82:85] offset:192
.LBB0_17:
	s_or_b64 exec, exec, s[38:39]
	s_waitcnt lgkmcnt(0)
	; wave barrier
	s_waitcnt lgkmcnt(0)
	ds_read_b128 v[72:75], v255
	ds_read_b128 v[0:3], v255 offset:832
	ds_read_b128 v[76:79], v255 offset:1664
	;; [unrolled: 1-line block ×5, first 2 shown]
	s_waitcnt lgkmcnt(4)
	v_mul_f64 v[36:37], v[18:19], v[2:3]
	v_mul_f64 v[18:19], v[18:19], v[0:1]
	s_waitcnt lgkmcnt(3)
	v_mul_f64 v[38:39], v[14:15], v[78:79]
	v_mul_f64 v[14:15], v[14:15], v[76:77]
	s_waitcnt lgkmcnt(2)
	v_mul_f64 v[40:41], v[10:11], v[82:83]
	v_mul_f64 v[10:11], v[10:11], v[80:81]
	ds_read_b128 v[92:95], v255 offset:4992
	ds_read_b128 v[96:99], v255 offset:5824
	;; [unrolled: 1-line block ×3, first 2 shown]
	s_mov_b32 s11, 0x3fe491b7
	v_fma_f64 v[0:1], v[16:17], v[0:1], v[36:37]
	v_fma_f64 v[2:3], v[16:17], v[2:3], -v[18:19]
	s_waitcnt lgkmcnt(4)
	v_mul_f64 v[16:17], v[6:7], v[86:87]
	v_mul_f64 v[6:7], v[6:7], v[84:85]
	v_fma_f64 v[18:19], v[12:13], v[76:77], v[38:39]
	v_fma_f64 v[12:13], v[12:13], v[78:79], -v[14:15]
	v_fma_f64 v[14:15], v[8:9], v[80:81], v[40:41]
	v_fma_f64 v[8:9], v[8:9], v[82:83], -v[10:11]
	s_waitcnt lgkmcnt(0)
	v_mul_f64 v[10:11], v[34:35], v[102:103]
	v_mul_f64 v[34:35], v[34:35], v[100:101]
	v_fma_f64 v[16:17], v[4:5], v[84:85], v[16:17]
	v_fma_f64 v[36:37], v[4:5], v[86:87], -v[6:7]
	v_mul_f64 v[4:5], v[30:31], v[98:99]
	v_mul_f64 v[6:7], v[30:31], v[96:97]
	;; [unrolled: 1-line block ×4, first 2 shown]
	v_fma_f64 v[10:11], v[32:33], v[100:101], v[10:11]
	v_fma_f64 v[32:33], v[32:33], v[102:103], -v[34:35]
	v_mul_f64 v[34:35], v[22:23], v[94:95]
	v_mul_f64 v[22:23], v[22:23], v[92:93]
	v_fma_f64 v[4:5], v[28:29], v[96:97], v[4:5]
	v_fma_f64 v[6:7], v[28:29], v[98:99], -v[6:7]
	v_fma_f64 v[28:29], v[24:25], v[88:89], v[30:31]
	v_fma_f64 v[24:25], v[24:25], v[90:91], -v[26:27]
	v_add_f64 v[26:27], v[0:1], -v[10:11]
	s_mov_b32 s10, 0x523c161c
	v_add_f64 v[30:31], v[2:3], -v[32:33]
	v_fma_f64 v[34:35], v[20:21], v[92:93], v[34:35]
	v_fma_f64 v[20:21], v[20:21], v[94:95], -v[22:23]
	v_add_f64 v[22:23], v[18:19], -v[4:5]
	s_mov_b32 s18, 0x8c811c17
	s_mov_b32 s19, 0x3fef838b
	v_mul_f64 v[40:41], v[26:27], s[10:11]
	v_add_f64 v[38:39], v[12:13], -v[6:7]
	v_mul_f64 v[42:43], v[30:31], s[10:11]
	v_add_f64 v[44:45], v[0:1], v[10:11]
	v_add_f64 v[32:33], v[2:3], v[32:33]
	v_add_f64 v[46:47], v[14:15], -v[34:35]
	s_mov_b32 s8, 0xe8584cab
	s_mov_b32 s20, 0xa2cf5039
	v_fma_f64 v[0:1], v[22:23], s[18:19], v[40:41]
	s_mov_b32 s9, 0x3febb67a
	s_mov_b32 s21, 0x3fe8836f
	v_fma_f64 v[2:3], v[38:39], s[18:19], v[42:43]
	v_add_f64 v[18:19], v[18:19], v[4:5]
	v_add_f64 v[12:13], v[12:13], v[6:7]
	;; [unrolled: 1-line block ×3, first 2 shown]
	v_add_f64 v[34:35], v[16:17], -v[28:29]
	v_fma_f64 v[0:1], v[46:47], s[8:9], v[0:1]
	v_add_f64 v[40:41], v[36:37], -v[24:25]
	v_fma_f64 v[4:5], v[44:45], s[20:21], v[72:73]
	v_fma_f64 v[6:7], v[32:33], s[20:21], v[74:75]
	v_add_f64 v[42:43], v[16:17], v[28:29]
	v_add_f64 v[78:79], v[36:37], v[24:25]
	s_mov_b32 s16, 0x748a0bf8
	s_mov_b32 s22, 0x7e0b738b
	;; [unrolled: 1-line block ×5, first 2 shown]
	v_add_f64 v[76:77], v[8:9], -v[20:21]
	v_add_f64 v[20:21], v[8:9], v[20:21]
	v_fma_f64 v[8:9], v[34:35], s[16:17], v[0:1]
	v_fma_f64 v[0:1], v[18:19], s[22:23], v[4:5]
	;; [unrolled: 1-line block ×3, first 2 shown]
	v_mul_f64 v[6:7], v[34:35], s[10:11]
	v_mul_f64 v[10:11], v[40:41], s[10:11]
	v_fma_f64 v[80:81], v[42:43], s[20:21], v[72:73]
	v_fma_f64 v[82:83], v[78:79], s[20:21], v[74:75]
	;; [unrolled: 1-line block ×3, first 2 shown]
	s_mov_b32 s24, 0x42522d1b
	v_fma_f64 v[0:1], v[14:15], -0.5, v[0:1]
	v_fma_f64 v[4:5], v[20:21], -0.5, v[4:5]
	v_fma_f64 v[6:7], v[26:27], s[18:19], v[6:7]
	v_fma_f64 v[10:11], v[30:31], s[18:19], v[10:11]
	;; [unrolled: 1-line block ×4, first 2 shown]
	s_mov_b32 s25, 0xbfee11f6
	s_mov_b32 s27, 0xbfebb67a
	;; [unrolled: 1-line block ×3, first 2 shown]
	v_fma_f64 v[2:3], v[40:41], s[16:17], v[2:3]
	v_fma_f64 v[0:1], v[42:43], s[24:25], v[0:1]
	;; [unrolled: 1-line block ×5, first 2 shown]
	v_fma_f64 v[80:81], v[14:15], -0.5, v[80:81]
	v_fma_f64 v[82:83], v[20:21], -0.5, v[82:83]
	v_add_f64 v[88:89], v[40:41], v[30:31]
	v_mul_f64 v[40:41], v[40:41], s[18:19]
	v_add_f64 v[4:5], v[0:1], -v[2:3]
	v_add_f64 v[6:7], v[8:9], v[84:85]
	v_fma_f64 v[84:85], v[22:23], s[16:17], v[86:87]
	v_fma_f64 v[86:87], v[38:39], s[16:17], v[10:11]
	;; [unrolled: 1-line block ×4, first 2 shown]
	v_add_f64 v[82:83], v[34:35], v[26:27]
	v_mul_f64 v[34:35], v[34:35], s[18:19]
	v_fma_f64 v[0:1], v[2:3], 2.0, v[4:5]
	v_fma_f64 v[2:3], v[8:9], -2.0, v[6:7]
	v_fma_f64 v[90:91], v[12:13], s[20:21], v[74:75]
	v_add_f64 v[12:13], v[12:13], v[32:33]
	v_add_f64 v[8:9], v[10:11], -v[86:87]
	v_add_f64 v[10:11], v[84:85], v[80:81]
	v_add_f64 v[80:81], v[82:83], -v[22:23]
	v_add_f64 v[82:83], v[88:89], -v[38:39]
	v_fma_f64 v[88:89], v[18:19], s[20:21], v[72:73]
	v_add_f64 v[18:19], v[18:19], v[44:45]
	v_fma_f64 v[22:23], v[22:23], s[10:11], -v[34:35]
	v_fma_f64 v[34:35], v[38:39], s[10:11], -v[40:41]
	v_fma_f64 v[40:41], v[78:79], s[22:23], v[90:91]
	v_add_f64 v[92:93], v[72:73], v[14:15]
	v_add_f64 v[94:95], v[74:75], v[20:21]
	v_fma_f64 v[38:39], v[42:43], s[22:23], v[88:89]
	v_add_f64 v[42:43], v[42:43], v[18:19]
	v_add_f64 v[18:19], v[14:15], v[18:19]
	;; [unrolled: 1-line block ×3, first 2 shown]
	v_fma_f64 v[22:23], v[46:47], s[8:9], v[22:23]
	v_fma_f64 v[34:35], v[76:77], s[8:9], v[34:35]
	v_fma_f64 v[20:21], v[20:21], -0.5, v[40:41]
	v_add_f64 v[12:13], v[78:79], v[12:13]
	v_fma_f64 v[14:15], v[14:15], -0.5, v[38:39]
	v_fma_f64 v[38:39], v[42:43], -0.5, v[92:93]
	v_add_f64 v[16:17], v[16:17], v[18:19]
	v_add_f64 v[18:19], v[36:37], v[88:89]
	v_fma_f64 v[40:41], v[26:27], s[16:17], v[22:23]
	v_fma_f64 v[34:35], v[30:31], s[16:17], v[34:35]
	v_fma_f64 v[20:21], v[32:33], s[24:25], v[20:21]
	v_fma_f64 v[36:37], v[12:13], -0.5, v[94:95]
	v_fma_f64 v[22:23], v[44:45], s[24:25], v[14:15]
	v_mul_f64 v[32:33], v[82:83], s[8:9]
	v_add_f64 v[26:27], v[28:29], v[16:17]
	v_add_f64 v[28:29], v[24:25], v[18:19]
	v_fma_f64 v[12:13], v[82:83], s[26:27], v[38:39]
	v_mul_f64 v[30:31], v[80:81], s[8:9]
	v_add_f64 v[18:19], v[40:41], v[20:21]
	v_fma_f64 v[14:15], v[80:81], s[8:9], v[36:37]
	v_add_f64 v[16:17], v[22:23], -v[34:35]
	v_fma_f64 v[20:21], v[86:87], 2.0, v[8:9]
	v_add_f64 v[24:25], v[72:73], v[26:27]
	v_add_f64 v[26:27], v[74:75], v[28:29]
	v_fma_f64 v[28:29], v[32:33], 2.0, v[12:13]
	v_fma_f64 v[22:23], v[84:85], -2.0, v[10:11]
	; wave barrier
	v_fma_f64 v[30:31], v[30:31], -2.0, v[14:15]
	v_fma_f64 v[32:33], v[34:35], 2.0, v[16:17]
	v_fma_f64 v[34:35], v[40:41], -2.0, v[18:19]
	ds_write_b128 v136, v[24:27]
	ds_write_b128 v136, v[4:7] offset:208
	ds_write_b128 v136, v[8:11] offset:416
	;; [unrolled: 1-line block ×8, first 2 shown]
	s_waitcnt lgkmcnt(0)
	; wave barrier
	s_waitcnt lgkmcnt(0)
	ds_read_b128 v[4:7], v255
	ds_read_b128 v[8:11], v255 offset:832
	ds_read_b128 v[28:31], v255 offset:1872
	;; [unrolled: 1-line block ×7, first 2 shown]
	s_and_saveexec_b64 s[8:9], s[2:3]
	s_cbranch_execz .LBB0_19
; %bb.18:
	ds_read_b128 v[0:3], v255 offset:1664
	ds_read_b128 v[128:131], v255 offset:3536
	;; [unrolled: 1-line block ×4, first 2 shown]
.LBB0_19:
	s_or_b64 exec, exec, s[8:9]
	s_waitcnt lgkmcnt(5)
	v_mul_f64 v[36:37], v[58:59], v[30:31]
	v_mul_f64 v[38:39], v[58:59], v[28:29]
	s_waitcnt lgkmcnt(3)
	v_mul_f64 v[40:41], v[54:55], v[34:35]
	v_mul_f64 v[42:43], v[54:55], v[32:33]
	;; [unrolled: 3-line block ×3, first 2 shown]
	v_fma_f64 v[28:29], v[56:57], v[28:29], v[36:37]
	v_mul_f64 v[36:37], v[50:51], v[24:25]
	v_fma_f64 v[30:31], v[56:57], v[30:31], -v[38:39]
	v_fma_f64 v[32:33], v[52:53], v[32:33], v[40:41]
	v_fma_f64 v[34:35], v[52:53], v[34:35], -v[42:43]
	v_mul_f64 v[38:39], v[62:63], v[14:15]
	v_mul_f64 v[40:41], v[62:63], v[12:13]
	;; [unrolled: 1-line block ×3, first 2 shown]
	s_waitcnt lgkmcnt(0)
	v_mul_f64 v[50:51], v[66:67], v[22:23]
	v_mul_f64 v[52:53], v[66:67], v[20:21]
	v_fma_f64 v[24:25], v[48:49], v[24:25], v[44:45]
	v_fma_f64 v[26:27], v[48:49], v[26:27], -v[36:37]
	v_fma_f64 v[18:19], v[68:69], v[18:19], -v[46:47]
	v_fma_f64 v[12:13], v[60:61], v[12:13], v[38:39]
	v_fma_f64 v[14:15], v[60:61], v[14:15], -v[40:41]
	v_fma_f64 v[16:17], v[68:69], v[16:17], v[42:43]
	v_fma_f64 v[20:21], v[64:65], v[20:21], v[50:51]
	v_fma_f64 v[22:23], v[64:65], v[22:23], -v[52:53]
	v_add_f64 v[32:33], v[4:5], -v[32:33]
	v_add_f64 v[34:35], v[6:7], -v[34:35]
	;; [unrolled: 1-line block ×8, first 2 shown]
	v_fma_f64 v[20:21], v[4:5], 2.0, -v[32:33]
	v_fma_f64 v[22:23], v[6:7], 2.0, -v[34:35]
	;; [unrolled: 1-line block ×8, first 2 shown]
	v_add_f64 v[8:9], v[32:33], v[26:27]
	v_add_f64 v[10:11], v[34:35], -v[24:25]
	v_add_f64 v[4:5], v[20:21], -v[4:5]
	;; [unrolled: 1-line block ×3, first 2 shown]
	v_add_f64 v[16:17], v[36:37], v[16:17]
	v_add_f64 v[18:19], v[38:39], -v[18:19]
	v_add_f64 v[12:13], v[28:29], -v[12:13]
	;; [unrolled: 1-line block ×3, first 2 shown]
	v_fma_f64 v[24:25], v[32:33], 2.0, -v[8:9]
	v_fma_f64 v[26:27], v[34:35], 2.0, -v[10:11]
	;; [unrolled: 1-line block ×8, first 2 shown]
	ds_write_b128 v255, v[20:23]
	ds_write_b128 v255, v[24:27] offset:1872
	ds_write_b128 v255, v[4:7] offset:3744
	;; [unrolled: 1-line block ×7, first 2 shown]
	s_and_saveexec_b64 s[8:9], s[2:3]
	s_cbranch_execz .LBB0_21
; %bb.20:
	v_mul_f64 v[4:5], v[167:168], v[124:125]
	s_waitcnt vmcnt(0)
	v_mul_f64 v[6:7], v[175:176], v[130:131]
	v_mul_f64 v[8:9], v[175:176], v[128:129]
	;; [unrolled: 1-line block ×5, first 2 shown]
	v_fma_f64 v[4:5], v[165:166], v[126:127], -v[4:5]
	v_fma_f64 v[6:7], v[173:174], v[128:129], v[6:7]
	v_fma_f64 v[8:9], v[173:174], v[130:131], -v[8:9]
	v_fma_f64 v[10:11], v[185:186], v[122:123], -v[10:11]
	v_fma_f64 v[12:13], v[165:166], v[124:125], v[12:13]
	v_fma_f64 v[14:15], v[185:186], v[120:121], v[14:15]
	v_add_f64 v[16:17], v[2:3], -v[4:5]
	v_add_f64 v[4:5], v[8:9], -v[10:11]
	;; [unrolled: 1-line block ×4, first 2 shown]
	v_fma_f64 v[14:15], v[2:3], 2.0, -v[16:17]
	v_fma_f64 v[8:9], v[8:9], 2.0, -v[4:5]
	;; [unrolled: 1-line block ×4, first 2 shown]
	v_add_f64 v[2:3], v[16:17], -v[10:11]
	v_add_f64 v[0:1], v[12:13], v[4:5]
	v_add_f64 v[6:7], v[14:15], -v[8:9]
	v_add_f64 v[4:5], v[18:19], -v[20:21]
	v_fma_f64 v[10:11], v[16:17], 2.0, -v[2:3]
	v_fma_f64 v[8:9], v[12:13], 2.0, -v[0:1]
	;; [unrolled: 1-line block ×4, first 2 shown]
	ds_write_b128 v255, v[8:11] offset:3536
	ds_write_b128 v255, v[4:7] offset:5408
	;; [unrolled: 1-line block ×4, first 2 shown]
.LBB0_21:
	s_or_b64 exec, exec, s[8:9]
	s_waitcnt lgkmcnt(0)
	; wave barrier
	s_waitcnt lgkmcnt(0)
	s_and_b64 exec, exec, s[0:1]
	s_cbranch_execz .LBB0_23
; %bb.22:
	global_load_dwordx4 v[0:3], v255, s[14:15]
	global_load_dwordx4 v[4:7], v255, s[14:15] offset:576
	global_load_dwordx4 v[8:11], v255, s[14:15] offset:1152
	;; [unrolled: 1-line block ×5, first 2 shown]
	ds_read_b128 v[24:27], v255
	ds_read_b128 v[28:31], v255 offset:576
	ds_read_b128 v[32:35], v255 offset:1152
	;; [unrolled: 1-line block ×5, first 2 shown]
	global_load_dwordx4 v[48:51], v255, s[14:15] offset:3456
	global_load_dwordx4 v[52:55], v255, s[14:15] offset:4032
	v_mov_b32_e32 v60, s15
	v_mad_u64_u32 v[78:79], s[2:3], s4, v232, 0
	v_add_co_u32_e32 v61, vcc, s14, v255
	v_mad_u64_u32 v[76:77], s[0:1], s6, v231, 0
	s_mul_hi_u32 s6, s4, 0x240
	s_mul_i32 s2, s4, 0x240
	s_movk_i32 s4, 0x1000
	v_addc_co_u32_e32 v60, vcc, 0, v60, vcc
	v_add_co_u32_e32 v80, vcc, s4, v61
	v_addc_co_u32_e32 v81, vcc, 0, v60, vcc
	ds_read_b128 v[56:59], v255 offset:6912
	global_load_dwordx4 v[60:63], v[80:81], off offset:512
	global_load_dwordx4 v[64:67], v[80:81], off offset:1088
	s_mul_i32 s3, s5, 0x240
	v_mov_b32_e32 v68, v77
	v_mov_b32_e32 v69, v79
	s_add_i32 s3, s6, s3
	v_mad_u64_u32 v[82:83], s[6:7], s7, v231, v[68:69]
	v_mad_u64_u32 v[83:84], s[4:5], s5, v232, v[69:70]
	v_mov_b32_e32 v77, v82
	global_load_dwordx4 v[68:71], v[80:81], off offset:1664
	global_load_dwordx4 v[72:75], v[80:81], off offset:2240
	v_lshlrev_b64 v[76:77], 4, v[76:77]
	v_mov_b32_e32 v79, v83
	v_mov_b32_e32 v85, s13
	v_lshlrev_b64 v[78:79], 4, v[78:79]
	v_add_co_u32_e32 v76, vcc, s12, v76
	v_addc_co_u32_e32 v77, vcc, v85, v77, vcc
	v_add_co_u32_e32 v76, vcc, v76, v78
	v_addc_co_u32_e32 v77, vcc, v77, v79, vcc
	v_mov_b32_e32 v86, s3
	v_add_co_u32_e32 v78, vcc, s2, v76
	v_addc_co_u32_e32 v79, vcc, v77, v86, vcc
	v_mov_b32_e32 v87, s3
	v_add_co_u32_e32 v82, vcc, s2, v78
	v_addc_co_u32_e32 v83, vcc, v79, v87, vcc
	s_mov_b32 s0, 0x11811812
	s_mov_b32 s1, 0x3f618118
	v_mov_b32_e32 v96, s3
	s_waitcnt vmcnt(11) lgkmcnt(6)
	v_mul_f64 v[84:85], v[26:27], v[2:3]
	v_mul_f64 v[2:3], v[24:25], v[2:3]
	s_waitcnt vmcnt(10) lgkmcnt(5)
	v_mul_f64 v[86:87], v[30:31], v[6:7]
	v_mul_f64 v[6:7], v[28:29], v[6:7]
	;; [unrolled: 3-line block ×4, first 2 shown]
	v_fma_f64 v[24:25], v[24:25], v[0:1], v[84:85]
	v_fma_f64 v[2:3], v[0:1], v[26:27], -v[2:3]
	v_fma_f64 v[26:27], v[28:29], v[4:5], v[86:87]
	v_fma_f64 v[6:7], v[4:5], v[30:31], -v[6:7]
	;; [unrolled: 2-line block ×3, first 2 shown]
	s_waitcnt vmcnt(7) lgkmcnt(2)
	v_mul_f64 v[92:93], v[42:43], v[18:19]
	v_mul_f64 v[18:19], v[40:41], v[18:19]
	v_fma_f64 v[30:31], v[36:37], v[12:13], v[90:91]
	v_fma_f64 v[14:15], v[12:13], v[38:39], -v[14:15]
	v_mul_f64 v[0:1], v[24:25], s[0:1]
	v_mul_f64 v[2:3], v[2:3], s[0:1]
	;; [unrolled: 1-line block ×6, first 2 shown]
	s_waitcnt vmcnt(6) lgkmcnt(1)
	v_mul_f64 v[94:95], v[46:47], v[22:23]
	v_mul_f64 v[22:23], v[44:45], v[22:23]
	v_fma_f64 v[24:25], v[40:41], v[16:17], v[92:93]
	v_fma_f64 v[16:17], v[16:17], v[42:43], -v[18:19]
	v_mul_f64 v[12:13], v[30:31], s[0:1]
	v_mul_f64 v[14:15], v[14:15], s[0:1]
	global_store_dwordx4 v[76:77], v[0:3], off
	global_store_dwordx4 v[78:79], v[4:7], off
	;; [unrolled: 1-line block ×3, first 2 shown]
	ds_read_b128 v[4:7], v255 offset:3456
	ds_read_b128 v[8:11], v255 offset:4032
	v_add_co_u32_e32 v18, vcc, s2, v82
	v_addc_co_u32_e32 v19, vcc, v83, v96, vcc
	global_store_dwordx4 v[18:19], v[12:15], off
	v_mul_f64 v[0:1], v[24:25], s[0:1]
	v_mul_f64 v[2:3], v[16:17], s[0:1]
	v_fma_f64 v[12:13], v[44:45], v[20:21], v[94:95]
	v_fma_f64 v[14:15], v[20:21], v[46:47], -v[22:23]
	s_waitcnt vmcnt(9) lgkmcnt(1)
	v_mul_f64 v[16:17], v[6:7], v[50:51]
	v_mul_f64 v[20:21], v[4:5], v[50:51]
	v_mov_b32_e32 v24, s3
	v_add_co_u32_e32 v18, vcc, s2, v18
	v_addc_co_u32_e32 v19, vcc, v19, v24, vcc
	global_store_dwordx4 v[18:19], v[0:3], off
	v_fma_f64 v[4:5], v[4:5], v[48:49], v[16:17]
	v_mul_f64 v[0:1], v[12:13], s[0:1]
	v_mul_f64 v[2:3], v[14:15], s[0:1]
	v_fma_f64 v[6:7], v[48:49], v[6:7], -v[20:21]
	s_waitcnt vmcnt(9) lgkmcnt(0)
	v_mul_f64 v[12:13], v[10:11], v[54:55]
	v_mul_f64 v[14:15], v[8:9], v[54:55]
	v_mov_b32_e32 v22, s3
	v_add_co_u32_e32 v16, vcc, s2, v18
	v_addc_co_u32_e32 v17, vcc, v19, v22, vcc
	global_store_dwordx4 v[16:17], v[0:3], off
	v_fma_f64 v[12:13], v[8:9], v[52:53], v[12:13]
	v_mul_f64 v[0:1], v[4:5], s[0:1]
	v_mul_f64 v[2:3], v[6:7], s[0:1]
	ds_read_b128 v[4:7], v255 offset:4608
	v_fma_f64 v[14:15], v[52:53], v[10:11], -v[14:15]
	ds_read_b128 v[8:11], v255 offset:5184
	v_add_co_u32_e32 v16, vcc, s2, v16
	s_waitcnt vmcnt(9) lgkmcnt(1)
	v_mul_f64 v[18:19], v[6:7], v[62:63]
	v_mul_f64 v[20:21], v[4:5], v[62:63]
	v_addc_co_u32_e32 v17, vcc, v17, v22, vcc
	global_store_dwordx4 v[16:17], v[0:3], off
	v_add_co_u32_e32 v16, vcc, s2, v16
	v_mul_f64 v[0:1], v[12:13], s[0:1]
	v_mul_f64 v[2:3], v[14:15], s[0:1]
	v_fma_f64 v[4:5], v[4:5], v[60:61], v[18:19]
	v_fma_f64 v[6:7], v[60:61], v[6:7], -v[20:21]
	s_waitcnt vmcnt(9) lgkmcnt(0)
	v_mul_f64 v[12:13], v[10:11], v[66:67]
	v_mul_f64 v[14:15], v[8:9], v[66:67]
	v_addc_co_u32_e32 v17, vcc, v17, v22, vcc
	v_mov_b32_e32 v18, s3
	global_store_dwordx4 v[16:17], v[0:3], off
	v_add_co_u32_e32 v16, vcc, s2, v16
	v_mul_f64 v[0:1], v[4:5], s[0:1]
	v_mul_f64 v[2:3], v[6:7], s[0:1]
	v_fma_f64 v[12:13], v[8:9], v[64:65], v[12:13]
	v_fma_f64 v[14:15], v[64:65], v[10:11], -v[14:15]
	ds_read_b128 v[4:7], v255 offset:5760
	ds_read_b128 v[8:11], v255 offset:6336
	v_addc_co_u32_e32 v17, vcc, v17, v18, vcc
	s_waitcnt vmcnt(9) lgkmcnt(1)
	v_mul_f64 v[18:19], v[6:7], v[70:71]
	v_mul_f64 v[20:21], v[4:5], v[70:71]
	s_waitcnt vmcnt(8) lgkmcnt(0)
	v_mul_f64 v[22:23], v[10:11], v[74:75]
	v_mul_f64 v[24:25], v[8:9], v[74:75]
	global_store_dwordx4 v[16:17], v[0:3], off
	v_fma_f64 v[4:5], v[4:5], v[68:69], v[18:19]
	v_mul_f64 v[0:1], v[12:13], s[0:1]
	v_mul_f64 v[2:3], v[14:15], s[0:1]
	v_fma_f64 v[6:7], v[68:69], v[6:7], -v[20:21]
	v_fma_f64 v[8:9], v[8:9], v[72:73], v[22:23]
	v_fma_f64 v[10:11], v[72:73], v[10:11], -v[24:25]
	v_mov_b32_e32 v13, s3
	v_add_co_u32_e32 v12, vcc, s2, v16
	v_addc_co_u32_e32 v13, vcc, v17, v13, vcc
	global_store_dwordx4 v[12:13], v[0:3], off
	v_mov_b32_e32 v14, s3
	v_mul_f64 v[0:1], v[4:5], s[0:1]
	v_mul_f64 v[2:3], v[6:7], s[0:1]
	;; [unrolled: 1-line block ×4, first 2 shown]
	v_add_co_u32_e32 v8, vcc, s2, v12
	v_addc_co_u32_e32 v9, vcc, v13, v14, vcc
	global_store_dwordx4 v[8:9], v[0:3], off
	s_nop 0
	v_mov_b32_e32 v0, s3
	v_add_co_u32_e32 v8, vcc, s2, v8
	v_addc_co_u32_e32 v9, vcc, v9, v0, vcc
	global_store_dwordx4 v[8:9], v[4:7], off
	global_load_dwordx4 v[0:3], v[80:81], off offset:2816
	s_waitcnt vmcnt(0)
	v_mul_f64 v[4:5], v[58:59], v[2:3]
	v_mul_f64 v[2:3], v[56:57], v[2:3]
	v_fma_f64 v[4:5], v[56:57], v[0:1], v[4:5]
	v_fma_f64 v[2:3], v[0:1], v[58:59], -v[2:3]
	v_mul_f64 v[0:1], v[4:5], s[0:1]
	v_mul_f64 v[2:3], v[2:3], s[0:1]
	v_mov_b32_e32 v5, s3
	v_add_co_u32_e32 v4, vcc, s2, v8
	v_addc_co_u32_e32 v5, vcc, v9, v5, vcc
	global_store_dwordx4 v[4:5], v[0:3], off
.LBB0_23:
	s_endpgm
	.section	.rodata,"a",@progbits
	.p2align	6, 0x0
	.amdhsa_kernel bluestein_single_fwd_len468_dim1_dp_op_CI_CI
		.amdhsa_group_segment_fixed_size 7488
		.amdhsa_private_segment_fixed_size 288
		.amdhsa_kernarg_size 104
		.amdhsa_user_sgpr_count 6
		.amdhsa_user_sgpr_private_segment_buffer 1
		.amdhsa_user_sgpr_dispatch_ptr 0
		.amdhsa_user_sgpr_queue_ptr 0
		.amdhsa_user_sgpr_kernarg_segment_ptr 1
		.amdhsa_user_sgpr_dispatch_id 0
		.amdhsa_user_sgpr_flat_scratch_init 0
		.amdhsa_user_sgpr_private_segment_size 0
		.amdhsa_uses_dynamic_stack 0
		.amdhsa_system_sgpr_private_segment_wavefront_offset 1
		.amdhsa_system_sgpr_workgroup_id_x 1
		.amdhsa_system_sgpr_workgroup_id_y 0
		.amdhsa_system_sgpr_workgroup_id_z 0
		.amdhsa_system_sgpr_workgroup_info 0
		.amdhsa_system_vgpr_workitem_id 0
		.amdhsa_next_free_vgpr 256
		.amdhsa_next_free_sgpr 56
		.amdhsa_reserve_vcc 1
		.amdhsa_reserve_flat_scratch 0
		.amdhsa_float_round_mode_32 0
		.amdhsa_float_round_mode_16_64 0
		.amdhsa_float_denorm_mode_32 3
		.amdhsa_float_denorm_mode_16_64 3
		.amdhsa_dx10_clamp 1
		.amdhsa_ieee_mode 1
		.amdhsa_fp16_overflow 0
		.amdhsa_exception_fp_ieee_invalid_op 0
		.amdhsa_exception_fp_denorm_src 0
		.amdhsa_exception_fp_ieee_div_zero 0
		.amdhsa_exception_fp_ieee_overflow 0
		.amdhsa_exception_fp_ieee_underflow 0
		.amdhsa_exception_fp_ieee_inexact 0
		.amdhsa_exception_int_div_zero 0
	.end_amdhsa_kernel
	.text
.Lfunc_end0:
	.size	bluestein_single_fwd_len468_dim1_dp_op_CI_CI, .Lfunc_end0-bluestein_single_fwd_len468_dim1_dp_op_CI_CI
                                        ; -- End function
	.section	.AMDGPU.csdata,"",@progbits
; Kernel info:
; codeLenInByte = 18056
; NumSgprs: 60
; NumVgprs: 256
; ScratchSize: 288
; MemoryBound: 0
; FloatMode: 240
; IeeeMode: 1
; LDSByteSize: 7488 bytes/workgroup (compile time only)
; SGPRBlocks: 7
; VGPRBlocks: 63
; NumSGPRsForWavesPerEU: 60
; NumVGPRsForWavesPerEU: 256
; Occupancy: 1
; WaveLimiterHint : 1
; COMPUTE_PGM_RSRC2:SCRATCH_EN: 1
; COMPUTE_PGM_RSRC2:USER_SGPR: 6
; COMPUTE_PGM_RSRC2:TRAP_HANDLER: 0
; COMPUTE_PGM_RSRC2:TGID_X_EN: 1
; COMPUTE_PGM_RSRC2:TGID_Y_EN: 0
; COMPUTE_PGM_RSRC2:TGID_Z_EN: 0
; COMPUTE_PGM_RSRC2:TIDIG_COMP_CNT: 0
	.type	__hip_cuid_60ff65c1bae435b5,@object ; @__hip_cuid_60ff65c1bae435b5
	.section	.bss,"aw",@nobits
	.globl	__hip_cuid_60ff65c1bae435b5
__hip_cuid_60ff65c1bae435b5:
	.byte	0                               ; 0x0
	.size	__hip_cuid_60ff65c1bae435b5, 1

	.ident	"AMD clang version 19.0.0git (https://github.com/RadeonOpenCompute/llvm-project roc-6.4.0 25133 c7fe45cf4b819c5991fe208aaa96edf142730f1d)"
	.section	".note.GNU-stack","",@progbits
	.addrsig
	.addrsig_sym __hip_cuid_60ff65c1bae435b5
	.amdgpu_metadata
---
amdhsa.kernels:
  - .args:
      - .actual_access:  read_only
        .address_space:  global
        .offset:         0
        .size:           8
        .value_kind:     global_buffer
      - .actual_access:  read_only
        .address_space:  global
        .offset:         8
        .size:           8
        .value_kind:     global_buffer
      - .actual_access:  read_only
        .address_space:  global
        .offset:         16
        .size:           8
        .value_kind:     global_buffer
      - .actual_access:  read_only
        .address_space:  global
        .offset:         24
        .size:           8
        .value_kind:     global_buffer
      - .actual_access:  read_only
        .address_space:  global
        .offset:         32
        .size:           8
        .value_kind:     global_buffer
      - .offset:         40
        .size:           8
        .value_kind:     by_value
      - .address_space:  global
        .offset:         48
        .size:           8
        .value_kind:     global_buffer
      - .address_space:  global
        .offset:         56
        .size:           8
        .value_kind:     global_buffer
      - .address_space:  global
        .offset:         64
        .size:           8
        .value_kind:     global_buffer
      - .address_space:  global
        .offset:         72
        .size:           8
        .value_kind:     global_buffer
      - .offset:         80
        .size:           4
        .value_kind:     by_value
      - .address_space:  global
        .offset:         88
        .size:           8
        .value_kind:     global_buffer
      - .address_space:  global
        .offset:         96
        .size:           8
        .value_kind:     global_buffer
    .group_segment_fixed_size: 7488
    .kernarg_segment_align: 8
    .kernarg_segment_size: 104
    .language:       OpenCL C
    .language_version:
      - 2
      - 0
    .max_flat_workgroup_size: 52
    .name:           bluestein_single_fwd_len468_dim1_dp_op_CI_CI
    .private_segment_fixed_size: 288
    .sgpr_count:     60
    .sgpr_spill_count: 0
    .symbol:         bluestein_single_fwd_len468_dim1_dp_op_CI_CI.kd
    .uniform_work_group_size: 1
    .uses_dynamic_stack: false
    .vgpr_count:     256
    .vgpr_spill_count: 75
    .wavefront_size: 64
amdhsa.target:   amdgcn-amd-amdhsa--gfx906
amdhsa.version:
  - 1
  - 2
...

	.end_amdgpu_metadata
